;; amdgpu-corpus repo=ROCm/rocThrust kind=compiled arch=gfx1100 opt=O3
	.text
	.amdgcn_target "amdgcn-amd-amdhsa--gfx1100"
	.amdhsa_code_object_version 6
	.section	.text._ZN6thrust23THRUST_200600_302600_NS11hip_rocprim14__parallel_for6kernelILj256ENS1_20__uninitialized_fill7functorINS0_10device_ptrIiEEiEEmLj1EEEvT0_T1_SA_,"axG",@progbits,_ZN6thrust23THRUST_200600_302600_NS11hip_rocprim14__parallel_for6kernelILj256ENS1_20__uninitialized_fill7functorINS0_10device_ptrIiEEiEEmLj1EEEvT0_T1_SA_,comdat
	.protected	_ZN6thrust23THRUST_200600_302600_NS11hip_rocprim14__parallel_for6kernelILj256ENS1_20__uninitialized_fill7functorINS0_10device_ptrIiEEiEEmLj1EEEvT0_T1_SA_ ; -- Begin function _ZN6thrust23THRUST_200600_302600_NS11hip_rocprim14__parallel_for6kernelILj256ENS1_20__uninitialized_fill7functorINS0_10device_ptrIiEEiEEmLj1EEEvT0_T1_SA_
	.globl	_ZN6thrust23THRUST_200600_302600_NS11hip_rocprim14__parallel_for6kernelILj256ENS1_20__uninitialized_fill7functorINS0_10device_ptrIiEEiEEmLj1EEEvT0_T1_SA_
	.p2align	8
	.type	_ZN6thrust23THRUST_200600_302600_NS11hip_rocprim14__parallel_for6kernelILj256ENS1_20__uninitialized_fill7functorINS0_10device_ptrIiEEiEEmLj1EEEvT0_T1_SA_,@function
_ZN6thrust23THRUST_200600_302600_NS11hip_rocprim14__parallel_for6kernelILj256ENS1_20__uninitialized_fill7functorINS0_10device_ptrIiEEiEEmLj1EEEvT0_T1_SA_: ; @_ZN6thrust23THRUST_200600_302600_NS11hip_rocprim14__parallel_for6kernelILj256ENS1_20__uninitialized_fill7functorINS0_10device_ptrIiEEiEEmLj1EEEvT0_T1_SA_
; %bb.0:
	s_load_b128 s[4:7], s[0:1], 0x10
	s_lshl_b32 s2, s15, 8
	s_waitcnt lgkmcnt(0)
	s_add_u32 s2, s2, s6
	s_addc_u32 s3, 0, s7
	s_sub_u32 s4, s4, s2
	s_subb_u32 s5, s5, s3
	s_delay_alu instid0(SALU_CYCLE_1) | instskip(NEXT) | instid1(VALU_DEP_1)
	v_cmp_gt_u64_e64 s5, 0x100, s[4:5]
	s_and_b32 vcc_lo, exec_lo, s5
	s_mov_b32 s5, 0
	s_cbranch_vccz .LBB0_2
; %bb.1:
	v_cmp_gt_u32_e32 vcc_lo, s4, v0
	s_and_b32 s5, vcc_lo, exec_lo
	s_cbranch_execz .LBB0_3
	s_branch .LBB0_4
.LBB0_2:
.LBB0_3:
	s_or_b32 s5, s5, exec_lo
.LBB0_4:
	s_delay_alu instid0(SALU_CYCLE_1)
	s_and_saveexec_b32 s4, s5
	s_cbranch_execnz .LBB0_6
; %bb.5:
	s_endpgm
.LBB0_6:
	s_clause 0x1
	s_load_b64 s[4:5], s[0:1], 0x0
	s_load_b32 s6, s[0:1], 0x8
	v_mov_b32_e32 v1, 0
	s_lshl_b64 s[0:1], s[2:3], 2
	s_waitcnt lgkmcnt(0)
	s_add_u32 s0, s4, s0
	v_mov_b32_e32 v2, s6
	v_lshlrev_b64 v[0:1], 2, v[0:1]
	s_addc_u32 s1, s5, s1
	s_delay_alu instid0(VALU_DEP_1) | instskip(NEXT) | instid1(VALU_DEP_2)
	v_add_co_u32 v0, vcc_lo, s0, v0
	v_add_co_ci_u32_e32 v1, vcc_lo, s1, v1, vcc_lo
	flat_store_b32 v[0:1], v2
	s_endpgm
	.section	.rodata,"a",@progbits
	.p2align	6, 0x0
	.amdhsa_kernel _ZN6thrust23THRUST_200600_302600_NS11hip_rocprim14__parallel_for6kernelILj256ENS1_20__uninitialized_fill7functorINS0_10device_ptrIiEEiEEmLj1EEEvT0_T1_SA_
		.amdhsa_group_segment_fixed_size 0
		.amdhsa_private_segment_fixed_size 0
		.amdhsa_kernarg_size 32
		.amdhsa_user_sgpr_count 15
		.amdhsa_user_sgpr_dispatch_ptr 0
		.amdhsa_user_sgpr_queue_ptr 0
		.amdhsa_user_sgpr_kernarg_segment_ptr 1
		.amdhsa_user_sgpr_dispatch_id 0
		.amdhsa_user_sgpr_private_segment_size 0
		.amdhsa_wavefront_size32 1
		.amdhsa_uses_dynamic_stack 0
		.amdhsa_enable_private_segment 0
		.amdhsa_system_sgpr_workgroup_id_x 1
		.amdhsa_system_sgpr_workgroup_id_y 0
		.amdhsa_system_sgpr_workgroup_id_z 0
		.amdhsa_system_sgpr_workgroup_info 0
		.amdhsa_system_vgpr_workitem_id 0
		.amdhsa_next_free_vgpr 3
		.amdhsa_next_free_sgpr 16
		.amdhsa_reserve_vcc 1
		.amdhsa_float_round_mode_32 0
		.amdhsa_float_round_mode_16_64 0
		.amdhsa_float_denorm_mode_32 3
		.amdhsa_float_denorm_mode_16_64 3
		.amdhsa_dx10_clamp 1
		.amdhsa_ieee_mode 1
		.amdhsa_fp16_overflow 0
		.amdhsa_workgroup_processor_mode 1
		.amdhsa_memory_ordered 1
		.amdhsa_forward_progress 0
		.amdhsa_shared_vgpr_count 0
		.amdhsa_exception_fp_ieee_invalid_op 0
		.amdhsa_exception_fp_denorm_src 0
		.amdhsa_exception_fp_ieee_div_zero 0
		.amdhsa_exception_fp_ieee_overflow 0
		.amdhsa_exception_fp_ieee_underflow 0
		.amdhsa_exception_fp_ieee_inexact 0
		.amdhsa_exception_int_div_zero 0
	.end_amdhsa_kernel
	.section	.text._ZN6thrust23THRUST_200600_302600_NS11hip_rocprim14__parallel_for6kernelILj256ENS1_20__uninitialized_fill7functorINS0_10device_ptrIiEEiEEmLj1EEEvT0_T1_SA_,"axG",@progbits,_ZN6thrust23THRUST_200600_302600_NS11hip_rocprim14__parallel_for6kernelILj256ENS1_20__uninitialized_fill7functorINS0_10device_ptrIiEEiEEmLj1EEEvT0_T1_SA_,comdat
.Lfunc_end0:
	.size	_ZN6thrust23THRUST_200600_302600_NS11hip_rocprim14__parallel_for6kernelILj256ENS1_20__uninitialized_fill7functorINS0_10device_ptrIiEEiEEmLj1EEEvT0_T1_SA_, .Lfunc_end0-_ZN6thrust23THRUST_200600_302600_NS11hip_rocprim14__parallel_for6kernelILj256ENS1_20__uninitialized_fill7functorINS0_10device_ptrIiEEiEEmLj1EEEvT0_T1_SA_
                                        ; -- End function
	.section	.AMDGPU.csdata,"",@progbits
; Kernel info:
; codeLenInByte = 176
; NumSgprs: 18
; NumVgprs: 3
; ScratchSize: 0
; MemoryBound: 0
; FloatMode: 240
; IeeeMode: 1
; LDSByteSize: 0 bytes/workgroup (compile time only)
; SGPRBlocks: 2
; VGPRBlocks: 0
; NumSGPRsForWavesPerEU: 18
; NumVGPRsForWavesPerEU: 3
; Occupancy: 16
; WaveLimiterHint : 0
; COMPUTE_PGM_RSRC2:SCRATCH_EN: 0
; COMPUTE_PGM_RSRC2:USER_SGPR: 15
; COMPUTE_PGM_RSRC2:TRAP_HANDLER: 0
; COMPUTE_PGM_RSRC2:TGID_X_EN: 1
; COMPUTE_PGM_RSRC2:TGID_Y_EN: 0
; COMPUTE_PGM_RSRC2:TGID_Z_EN: 0
; COMPUTE_PGM_RSRC2:TIDIG_COMP_CNT: 0
	.section	.text._ZN7rocprim17ROCPRIM_400000_NS6detail17trampoline_kernelINS0_14default_configENS1_21merge_config_selectorIiNS0_10empty_typeEEEZNS1_10merge_implIS3_N6thrust23THRUST_200600_302600_NS6detail15normal_iteratorINS9_10device_ptrIKiEEEESF_NSB_INSC_IiEEEEPS5_SI_SI_NS9_4lessIiEEEE10hipError_tPvRmT0_T1_T2_T3_T4_T5_mmT6_P12ihipStream_tbEUlT_E_NS1_11comp_targetILNS1_3genE0ELNS1_11target_archE4294967295ELNS1_3gpuE0ELNS1_3repE0EEENS1_30default_config_static_selectorELNS0_4arch9wavefront6targetE0EEEvSP_,"axG",@progbits,_ZN7rocprim17ROCPRIM_400000_NS6detail17trampoline_kernelINS0_14default_configENS1_21merge_config_selectorIiNS0_10empty_typeEEEZNS1_10merge_implIS3_N6thrust23THRUST_200600_302600_NS6detail15normal_iteratorINS9_10device_ptrIKiEEEESF_NSB_INSC_IiEEEEPS5_SI_SI_NS9_4lessIiEEEE10hipError_tPvRmT0_T1_T2_T3_T4_T5_mmT6_P12ihipStream_tbEUlT_E_NS1_11comp_targetILNS1_3genE0ELNS1_11target_archE4294967295ELNS1_3gpuE0ELNS1_3repE0EEENS1_30default_config_static_selectorELNS0_4arch9wavefront6targetE0EEEvSP_,comdat
	.protected	_ZN7rocprim17ROCPRIM_400000_NS6detail17trampoline_kernelINS0_14default_configENS1_21merge_config_selectorIiNS0_10empty_typeEEEZNS1_10merge_implIS3_N6thrust23THRUST_200600_302600_NS6detail15normal_iteratorINS9_10device_ptrIKiEEEESF_NSB_INSC_IiEEEEPS5_SI_SI_NS9_4lessIiEEEE10hipError_tPvRmT0_T1_T2_T3_T4_T5_mmT6_P12ihipStream_tbEUlT_E_NS1_11comp_targetILNS1_3genE0ELNS1_11target_archE4294967295ELNS1_3gpuE0ELNS1_3repE0EEENS1_30default_config_static_selectorELNS0_4arch9wavefront6targetE0EEEvSP_ ; -- Begin function _ZN7rocprim17ROCPRIM_400000_NS6detail17trampoline_kernelINS0_14default_configENS1_21merge_config_selectorIiNS0_10empty_typeEEEZNS1_10merge_implIS3_N6thrust23THRUST_200600_302600_NS6detail15normal_iteratorINS9_10device_ptrIKiEEEESF_NSB_INSC_IiEEEEPS5_SI_SI_NS9_4lessIiEEEE10hipError_tPvRmT0_T1_T2_T3_T4_T5_mmT6_P12ihipStream_tbEUlT_E_NS1_11comp_targetILNS1_3genE0ELNS1_11target_archE4294967295ELNS1_3gpuE0ELNS1_3repE0EEENS1_30default_config_static_selectorELNS0_4arch9wavefront6targetE0EEEvSP_
	.globl	_ZN7rocprim17ROCPRIM_400000_NS6detail17trampoline_kernelINS0_14default_configENS1_21merge_config_selectorIiNS0_10empty_typeEEEZNS1_10merge_implIS3_N6thrust23THRUST_200600_302600_NS6detail15normal_iteratorINS9_10device_ptrIKiEEEESF_NSB_INSC_IiEEEEPS5_SI_SI_NS9_4lessIiEEEE10hipError_tPvRmT0_T1_T2_T3_T4_T5_mmT6_P12ihipStream_tbEUlT_E_NS1_11comp_targetILNS1_3genE0ELNS1_11target_archE4294967295ELNS1_3gpuE0ELNS1_3repE0EEENS1_30default_config_static_selectorELNS0_4arch9wavefront6targetE0EEEvSP_
	.p2align	8
	.type	_ZN7rocprim17ROCPRIM_400000_NS6detail17trampoline_kernelINS0_14default_configENS1_21merge_config_selectorIiNS0_10empty_typeEEEZNS1_10merge_implIS3_N6thrust23THRUST_200600_302600_NS6detail15normal_iteratorINS9_10device_ptrIKiEEEESF_NSB_INSC_IiEEEEPS5_SI_SI_NS9_4lessIiEEEE10hipError_tPvRmT0_T1_T2_T3_T4_T5_mmT6_P12ihipStream_tbEUlT_E_NS1_11comp_targetILNS1_3genE0ELNS1_11target_archE4294967295ELNS1_3gpuE0ELNS1_3repE0EEENS1_30default_config_static_selectorELNS0_4arch9wavefront6targetE0EEEvSP_,@function
_ZN7rocprim17ROCPRIM_400000_NS6detail17trampoline_kernelINS0_14default_configENS1_21merge_config_selectorIiNS0_10empty_typeEEEZNS1_10merge_implIS3_N6thrust23THRUST_200600_302600_NS6detail15normal_iteratorINS9_10device_ptrIKiEEEESF_NSB_INSC_IiEEEEPS5_SI_SI_NS9_4lessIiEEEE10hipError_tPvRmT0_T1_T2_T3_T4_T5_mmT6_P12ihipStream_tbEUlT_E_NS1_11comp_targetILNS1_3genE0ELNS1_11target_archE4294967295ELNS1_3gpuE0ELNS1_3repE0EEENS1_30default_config_static_selectorELNS0_4arch9wavefront6targetE0EEEvSP_: ; @_ZN7rocprim17ROCPRIM_400000_NS6detail17trampoline_kernelINS0_14default_configENS1_21merge_config_selectorIiNS0_10empty_typeEEEZNS1_10merge_implIS3_N6thrust23THRUST_200600_302600_NS6detail15normal_iteratorINS9_10device_ptrIKiEEEESF_NSB_INSC_IiEEEEPS5_SI_SI_NS9_4lessIiEEEE10hipError_tPvRmT0_T1_T2_T3_T4_T5_mmT6_P12ihipStream_tbEUlT_E_NS1_11comp_targetILNS1_3genE0ELNS1_11target_archE4294967295ELNS1_3gpuE0ELNS1_3repE0EEENS1_30default_config_static_selectorELNS0_4arch9wavefront6targetE0EEEvSP_
; %bb.0:
	.section	.rodata,"a",@progbits
	.p2align	6, 0x0
	.amdhsa_kernel _ZN7rocprim17ROCPRIM_400000_NS6detail17trampoline_kernelINS0_14default_configENS1_21merge_config_selectorIiNS0_10empty_typeEEEZNS1_10merge_implIS3_N6thrust23THRUST_200600_302600_NS6detail15normal_iteratorINS9_10device_ptrIKiEEEESF_NSB_INSC_IiEEEEPS5_SI_SI_NS9_4lessIiEEEE10hipError_tPvRmT0_T1_T2_T3_T4_T5_mmT6_P12ihipStream_tbEUlT_E_NS1_11comp_targetILNS1_3genE0ELNS1_11target_archE4294967295ELNS1_3gpuE0ELNS1_3repE0EEENS1_30default_config_static_selectorELNS0_4arch9wavefront6targetE0EEEvSP_
		.amdhsa_group_segment_fixed_size 0
		.amdhsa_private_segment_fixed_size 0
		.amdhsa_kernarg_size 48
		.amdhsa_user_sgpr_count 15
		.amdhsa_user_sgpr_dispatch_ptr 0
		.amdhsa_user_sgpr_queue_ptr 0
		.amdhsa_user_sgpr_kernarg_segment_ptr 1
		.amdhsa_user_sgpr_dispatch_id 0
		.amdhsa_user_sgpr_private_segment_size 0
		.amdhsa_wavefront_size32 1
		.amdhsa_uses_dynamic_stack 0
		.amdhsa_enable_private_segment 0
		.amdhsa_system_sgpr_workgroup_id_x 1
		.amdhsa_system_sgpr_workgroup_id_y 0
		.amdhsa_system_sgpr_workgroup_id_z 0
		.amdhsa_system_sgpr_workgroup_info 0
		.amdhsa_system_vgpr_workitem_id 0
		.amdhsa_next_free_vgpr 1
		.amdhsa_next_free_sgpr 1
		.amdhsa_reserve_vcc 0
		.amdhsa_float_round_mode_32 0
		.amdhsa_float_round_mode_16_64 0
		.amdhsa_float_denorm_mode_32 3
		.amdhsa_float_denorm_mode_16_64 3
		.amdhsa_dx10_clamp 1
		.amdhsa_ieee_mode 1
		.amdhsa_fp16_overflow 0
		.amdhsa_workgroup_processor_mode 1
		.amdhsa_memory_ordered 1
		.amdhsa_forward_progress 0
		.amdhsa_shared_vgpr_count 0
		.amdhsa_exception_fp_ieee_invalid_op 0
		.amdhsa_exception_fp_denorm_src 0
		.amdhsa_exception_fp_ieee_div_zero 0
		.amdhsa_exception_fp_ieee_overflow 0
		.amdhsa_exception_fp_ieee_underflow 0
		.amdhsa_exception_fp_ieee_inexact 0
		.amdhsa_exception_int_div_zero 0
	.end_amdhsa_kernel
	.section	.text._ZN7rocprim17ROCPRIM_400000_NS6detail17trampoline_kernelINS0_14default_configENS1_21merge_config_selectorIiNS0_10empty_typeEEEZNS1_10merge_implIS3_N6thrust23THRUST_200600_302600_NS6detail15normal_iteratorINS9_10device_ptrIKiEEEESF_NSB_INSC_IiEEEEPS5_SI_SI_NS9_4lessIiEEEE10hipError_tPvRmT0_T1_T2_T3_T4_T5_mmT6_P12ihipStream_tbEUlT_E_NS1_11comp_targetILNS1_3genE0ELNS1_11target_archE4294967295ELNS1_3gpuE0ELNS1_3repE0EEENS1_30default_config_static_selectorELNS0_4arch9wavefront6targetE0EEEvSP_,"axG",@progbits,_ZN7rocprim17ROCPRIM_400000_NS6detail17trampoline_kernelINS0_14default_configENS1_21merge_config_selectorIiNS0_10empty_typeEEEZNS1_10merge_implIS3_N6thrust23THRUST_200600_302600_NS6detail15normal_iteratorINS9_10device_ptrIKiEEEESF_NSB_INSC_IiEEEEPS5_SI_SI_NS9_4lessIiEEEE10hipError_tPvRmT0_T1_T2_T3_T4_T5_mmT6_P12ihipStream_tbEUlT_E_NS1_11comp_targetILNS1_3genE0ELNS1_11target_archE4294967295ELNS1_3gpuE0ELNS1_3repE0EEENS1_30default_config_static_selectorELNS0_4arch9wavefront6targetE0EEEvSP_,comdat
.Lfunc_end1:
	.size	_ZN7rocprim17ROCPRIM_400000_NS6detail17trampoline_kernelINS0_14default_configENS1_21merge_config_selectorIiNS0_10empty_typeEEEZNS1_10merge_implIS3_N6thrust23THRUST_200600_302600_NS6detail15normal_iteratorINS9_10device_ptrIKiEEEESF_NSB_INSC_IiEEEEPS5_SI_SI_NS9_4lessIiEEEE10hipError_tPvRmT0_T1_T2_T3_T4_T5_mmT6_P12ihipStream_tbEUlT_E_NS1_11comp_targetILNS1_3genE0ELNS1_11target_archE4294967295ELNS1_3gpuE0ELNS1_3repE0EEENS1_30default_config_static_selectorELNS0_4arch9wavefront6targetE0EEEvSP_, .Lfunc_end1-_ZN7rocprim17ROCPRIM_400000_NS6detail17trampoline_kernelINS0_14default_configENS1_21merge_config_selectorIiNS0_10empty_typeEEEZNS1_10merge_implIS3_N6thrust23THRUST_200600_302600_NS6detail15normal_iteratorINS9_10device_ptrIKiEEEESF_NSB_INSC_IiEEEEPS5_SI_SI_NS9_4lessIiEEEE10hipError_tPvRmT0_T1_T2_T3_T4_T5_mmT6_P12ihipStream_tbEUlT_E_NS1_11comp_targetILNS1_3genE0ELNS1_11target_archE4294967295ELNS1_3gpuE0ELNS1_3repE0EEENS1_30default_config_static_selectorELNS0_4arch9wavefront6targetE0EEEvSP_
                                        ; -- End function
	.section	.AMDGPU.csdata,"",@progbits
; Kernel info:
; codeLenInByte = 0
; NumSgprs: 0
; NumVgprs: 0
; ScratchSize: 0
; MemoryBound: 0
; FloatMode: 240
; IeeeMode: 1
; LDSByteSize: 0 bytes/workgroup (compile time only)
; SGPRBlocks: 0
; VGPRBlocks: 0
; NumSGPRsForWavesPerEU: 1
; NumVGPRsForWavesPerEU: 1
; Occupancy: 16
; WaveLimiterHint : 0
; COMPUTE_PGM_RSRC2:SCRATCH_EN: 0
; COMPUTE_PGM_RSRC2:USER_SGPR: 15
; COMPUTE_PGM_RSRC2:TRAP_HANDLER: 0
; COMPUTE_PGM_RSRC2:TGID_X_EN: 1
; COMPUTE_PGM_RSRC2:TGID_Y_EN: 0
; COMPUTE_PGM_RSRC2:TGID_Z_EN: 0
; COMPUTE_PGM_RSRC2:TIDIG_COMP_CNT: 0
	.section	.text._ZN7rocprim17ROCPRIM_400000_NS6detail17trampoline_kernelINS0_14default_configENS1_21merge_config_selectorIiNS0_10empty_typeEEEZNS1_10merge_implIS3_N6thrust23THRUST_200600_302600_NS6detail15normal_iteratorINS9_10device_ptrIKiEEEESF_NSB_INSC_IiEEEEPS5_SI_SI_NS9_4lessIiEEEE10hipError_tPvRmT0_T1_T2_T3_T4_T5_mmT6_P12ihipStream_tbEUlT_E_NS1_11comp_targetILNS1_3genE5ELNS1_11target_archE942ELNS1_3gpuE9ELNS1_3repE0EEENS1_30default_config_static_selectorELNS0_4arch9wavefront6targetE0EEEvSP_,"axG",@progbits,_ZN7rocprim17ROCPRIM_400000_NS6detail17trampoline_kernelINS0_14default_configENS1_21merge_config_selectorIiNS0_10empty_typeEEEZNS1_10merge_implIS3_N6thrust23THRUST_200600_302600_NS6detail15normal_iteratorINS9_10device_ptrIKiEEEESF_NSB_INSC_IiEEEEPS5_SI_SI_NS9_4lessIiEEEE10hipError_tPvRmT0_T1_T2_T3_T4_T5_mmT6_P12ihipStream_tbEUlT_E_NS1_11comp_targetILNS1_3genE5ELNS1_11target_archE942ELNS1_3gpuE9ELNS1_3repE0EEENS1_30default_config_static_selectorELNS0_4arch9wavefront6targetE0EEEvSP_,comdat
	.protected	_ZN7rocprim17ROCPRIM_400000_NS6detail17trampoline_kernelINS0_14default_configENS1_21merge_config_selectorIiNS0_10empty_typeEEEZNS1_10merge_implIS3_N6thrust23THRUST_200600_302600_NS6detail15normal_iteratorINS9_10device_ptrIKiEEEESF_NSB_INSC_IiEEEEPS5_SI_SI_NS9_4lessIiEEEE10hipError_tPvRmT0_T1_T2_T3_T4_T5_mmT6_P12ihipStream_tbEUlT_E_NS1_11comp_targetILNS1_3genE5ELNS1_11target_archE942ELNS1_3gpuE9ELNS1_3repE0EEENS1_30default_config_static_selectorELNS0_4arch9wavefront6targetE0EEEvSP_ ; -- Begin function _ZN7rocprim17ROCPRIM_400000_NS6detail17trampoline_kernelINS0_14default_configENS1_21merge_config_selectorIiNS0_10empty_typeEEEZNS1_10merge_implIS3_N6thrust23THRUST_200600_302600_NS6detail15normal_iteratorINS9_10device_ptrIKiEEEESF_NSB_INSC_IiEEEEPS5_SI_SI_NS9_4lessIiEEEE10hipError_tPvRmT0_T1_T2_T3_T4_T5_mmT6_P12ihipStream_tbEUlT_E_NS1_11comp_targetILNS1_3genE5ELNS1_11target_archE942ELNS1_3gpuE9ELNS1_3repE0EEENS1_30default_config_static_selectorELNS0_4arch9wavefront6targetE0EEEvSP_
	.globl	_ZN7rocprim17ROCPRIM_400000_NS6detail17trampoline_kernelINS0_14default_configENS1_21merge_config_selectorIiNS0_10empty_typeEEEZNS1_10merge_implIS3_N6thrust23THRUST_200600_302600_NS6detail15normal_iteratorINS9_10device_ptrIKiEEEESF_NSB_INSC_IiEEEEPS5_SI_SI_NS9_4lessIiEEEE10hipError_tPvRmT0_T1_T2_T3_T4_T5_mmT6_P12ihipStream_tbEUlT_E_NS1_11comp_targetILNS1_3genE5ELNS1_11target_archE942ELNS1_3gpuE9ELNS1_3repE0EEENS1_30default_config_static_selectorELNS0_4arch9wavefront6targetE0EEEvSP_
	.p2align	8
	.type	_ZN7rocprim17ROCPRIM_400000_NS6detail17trampoline_kernelINS0_14default_configENS1_21merge_config_selectorIiNS0_10empty_typeEEEZNS1_10merge_implIS3_N6thrust23THRUST_200600_302600_NS6detail15normal_iteratorINS9_10device_ptrIKiEEEESF_NSB_INSC_IiEEEEPS5_SI_SI_NS9_4lessIiEEEE10hipError_tPvRmT0_T1_T2_T3_T4_T5_mmT6_P12ihipStream_tbEUlT_E_NS1_11comp_targetILNS1_3genE5ELNS1_11target_archE942ELNS1_3gpuE9ELNS1_3repE0EEENS1_30default_config_static_selectorELNS0_4arch9wavefront6targetE0EEEvSP_,@function
_ZN7rocprim17ROCPRIM_400000_NS6detail17trampoline_kernelINS0_14default_configENS1_21merge_config_selectorIiNS0_10empty_typeEEEZNS1_10merge_implIS3_N6thrust23THRUST_200600_302600_NS6detail15normal_iteratorINS9_10device_ptrIKiEEEESF_NSB_INSC_IiEEEEPS5_SI_SI_NS9_4lessIiEEEE10hipError_tPvRmT0_T1_T2_T3_T4_T5_mmT6_P12ihipStream_tbEUlT_E_NS1_11comp_targetILNS1_3genE5ELNS1_11target_archE942ELNS1_3gpuE9ELNS1_3repE0EEENS1_30default_config_static_selectorELNS0_4arch9wavefront6targetE0EEEvSP_: ; @_ZN7rocprim17ROCPRIM_400000_NS6detail17trampoline_kernelINS0_14default_configENS1_21merge_config_selectorIiNS0_10empty_typeEEEZNS1_10merge_implIS3_N6thrust23THRUST_200600_302600_NS6detail15normal_iteratorINS9_10device_ptrIKiEEEESF_NSB_INSC_IiEEEEPS5_SI_SI_NS9_4lessIiEEEE10hipError_tPvRmT0_T1_T2_T3_T4_T5_mmT6_P12ihipStream_tbEUlT_E_NS1_11comp_targetILNS1_3genE5ELNS1_11target_archE942ELNS1_3gpuE9ELNS1_3repE0EEENS1_30default_config_static_selectorELNS0_4arch9wavefront6targetE0EEEvSP_
; %bb.0:
	.section	.rodata,"a",@progbits
	.p2align	6, 0x0
	.amdhsa_kernel _ZN7rocprim17ROCPRIM_400000_NS6detail17trampoline_kernelINS0_14default_configENS1_21merge_config_selectorIiNS0_10empty_typeEEEZNS1_10merge_implIS3_N6thrust23THRUST_200600_302600_NS6detail15normal_iteratorINS9_10device_ptrIKiEEEESF_NSB_INSC_IiEEEEPS5_SI_SI_NS9_4lessIiEEEE10hipError_tPvRmT0_T1_T2_T3_T4_T5_mmT6_P12ihipStream_tbEUlT_E_NS1_11comp_targetILNS1_3genE5ELNS1_11target_archE942ELNS1_3gpuE9ELNS1_3repE0EEENS1_30default_config_static_selectorELNS0_4arch9wavefront6targetE0EEEvSP_
		.amdhsa_group_segment_fixed_size 0
		.amdhsa_private_segment_fixed_size 0
		.amdhsa_kernarg_size 48
		.amdhsa_user_sgpr_count 15
		.amdhsa_user_sgpr_dispatch_ptr 0
		.amdhsa_user_sgpr_queue_ptr 0
		.amdhsa_user_sgpr_kernarg_segment_ptr 1
		.amdhsa_user_sgpr_dispatch_id 0
		.amdhsa_user_sgpr_private_segment_size 0
		.amdhsa_wavefront_size32 1
		.amdhsa_uses_dynamic_stack 0
		.amdhsa_enable_private_segment 0
		.amdhsa_system_sgpr_workgroup_id_x 1
		.amdhsa_system_sgpr_workgroup_id_y 0
		.amdhsa_system_sgpr_workgroup_id_z 0
		.amdhsa_system_sgpr_workgroup_info 0
		.amdhsa_system_vgpr_workitem_id 0
		.amdhsa_next_free_vgpr 1
		.amdhsa_next_free_sgpr 1
		.amdhsa_reserve_vcc 0
		.amdhsa_float_round_mode_32 0
		.amdhsa_float_round_mode_16_64 0
		.amdhsa_float_denorm_mode_32 3
		.amdhsa_float_denorm_mode_16_64 3
		.amdhsa_dx10_clamp 1
		.amdhsa_ieee_mode 1
		.amdhsa_fp16_overflow 0
		.amdhsa_workgroup_processor_mode 1
		.amdhsa_memory_ordered 1
		.amdhsa_forward_progress 0
		.amdhsa_shared_vgpr_count 0
		.amdhsa_exception_fp_ieee_invalid_op 0
		.amdhsa_exception_fp_denorm_src 0
		.amdhsa_exception_fp_ieee_div_zero 0
		.amdhsa_exception_fp_ieee_overflow 0
		.amdhsa_exception_fp_ieee_underflow 0
		.amdhsa_exception_fp_ieee_inexact 0
		.amdhsa_exception_int_div_zero 0
	.end_amdhsa_kernel
	.section	.text._ZN7rocprim17ROCPRIM_400000_NS6detail17trampoline_kernelINS0_14default_configENS1_21merge_config_selectorIiNS0_10empty_typeEEEZNS1_10merge_implIS3_N6thrust23THRUST_200600_302600_NS6detail15normal_iteratorINS9_10device_ptrIKiEEEESF_NSB_INSC_IiEEEEPS5_SI_SI_NS9_4lessIiEEEE10hipError_tPvRmT0_T1_T2_T3_T4_T5_mmT6_P12ihipStream_tbEUlT_E_NS1_11comp_targetILNS1_3genE5ELNS1_11target_archE942ELNS1_3gpuE9ELNS1_3repE0EEENS1_30default_config_static_selectorELNS0_4arch9wavefront6targetE0EEEvSP_,"axG",@progbits,_ZN7rocprim17ROCPRIM_400000_NS6detail17trampoline_kernelINS0_14default_configENS1_21merge_config_selectorIiNS0_10empty_typeEEEZNS1_10merge_implIS3_N6thrust23THRUST_200600_302600_NS6detail15normal_iteratorINS9_10device_ptrIKiEEEESF_NSB_INSC_IiEEEEPS5_SI_SI_NS9_4lessIiEEEE10hipError_tPvRmT0_T1_T2_T3_T4_T5_mmT6_P12ihipStream_tbEUlT_E_NS1_11comp_targetILNS1_3genE5ELNS1_11target_archE942ELNS1_3gpuE9ELNS1_3repE0EEENS1_30default_config_static_selectorELNS0_4arch9wavefront6targetE0EEEvSP_,comdat
.Lfunc_end2:
	.size	_ZN7rocprim17ROCPRIM_400000_NS6detail17trampoline_kernelINS0_14default_configENS1_21merge_config_selectorIiNS0_10empty_typeEEEZNS1_10merge_implIS3_N6thrust23THRUST_200600_302600_NS6detail15normal_iteratorINS9_10device_ptrIKiEEEESF_NSB_INSC_IiEEEEPS5_SI_SI_NS9_4lessIiEEEE10hipError_tPvRmT0_T1_T2_T3_T4_T5_mmT6_P12ihipStream_tbEUlT_E_NS1_11comp_targetILNS1_3genE5ELNS1_11target_archE942ELNS1_3gpuE9ELNS1_3repE0EEENS1_30default_config_static_selectorELNS0_4arch9wavefront6targetE0EEEvSP_, .Lfunc_end2-_ZN7rocprim17ROCPRIM_400000_NS6detail17trampoline_kernelINS0_14default_configENS1_21merge_config_selectorIiNS0_10empty_typeEEEZNS1_10merge_implIS3_N6thrust23THRUST_200600_302600_NS6detail15normal_iteratorINS9_10device_ptrIKiEEEESF_NSB_INSC_IiEEEEPS5_SI_SI_NS9_4lessIiEEEE10hipError_tPvRmT0_T1_T2_T3_T4_T5_mmT6_P12ihipStream_tbEUlT_E_NS1_11comp_targetILNS1_3genE5ELNS1_11target_archE942ELNS1_3gpuE9ELNS1_3repE0EEENS1_30default_config_static_selectorELNS0_4arch9wavefront6targetE0EEEvSP_
                                        ; -- End function
	.section	.AMDGPU.csdata,"",@progbits
; Kernel info:
; codeLenInByte = 0
; NumSgprs: 0
; NumVgprs: 0
; ScratchSize: 0
; MemoryBound: 0
; FloatMode: 240
; IeeeMode: 1
; LDSByteSize: 0 bytes/workgroup (compile time only)
; SGPRBlocks: 0
; VGPRBlocks: 0
; NumSGPRsForWavesPerEU: 1
; NumVGPRsForWavesPerEU: 1
; Occupancy: 16
; WaveLimiterHint : 0
; COMPUTE_PGM_RSRC2:SCRATCH_EN: 0
; COMPUTE_PGM_RSRC2:USER_SGPR: 15
; COMPUTE_PGM_RSRC2:TRAP_HANDLER: 0
; COMPUTE_PGM_RSRC2:TGID_X_EN: 1
; COMPUTE_PGM_RSRC2:TGID_Y_EN: 0
; COMPUTE_PGM_RSRC2:TGID_Z_EN: 0
; COMPUTE_PGM_RSRC2:TIDIG_COMP_CNT: 0
	.section	.text._ZN7rocprim17ROCPRIM_400000_NS6detail17trampoline_kernelINS0_14default_configENS1_21merge_config_selectorIiNS0_10empty_typeEEEZNS1_10merge_implIS3_N6thrust23THRUST_200600_302600_NS6detail15normal_iteratorINS9_10device_ptrIKiEEEESF_NSB_INSC_IiEEEEPS5_SI_SI_NS9_4lessIiEEEE10hipError_tPvRmT0_T1_T2_T3_T4_T5_mmT6_P12ihipStream_tbEUlT_E_NS1_11comp_targetILNS1_3genE4ELNS1_11target_archE910ELNS1_3gpuE8ELNS1_3repE0EEENS1_30default_config_static_selectorELNS0_4arch9wavefront6targetE0EEEvSP_,"axG",@progbits,_ZN7rocprim17ROCPRIM_400000_NS6detail17trampoline_kernelINS0_14default_configENS1_21merge_config_selectorIiNS0_10empty_typeEEEZNS1_10merge_implIS3_N6thrust23THRUST_200600_302600_NS6detail15normal_iteratorINS9_10device_ptrIKiEEEESF_NSB_INSC_IiEEEEPS5_SI_SI_NS9_4lessIiEEEE10hipError_tPvRmT0_T1_T2_T3_T4_T5_mmT6_P12ihipStream_tbEUlT_E_NS1_11comp_targetILNS1_3genE4ELNS1_11target_archE910ELNS1_3gpuE8ELNS1_3repE0EEENS1_30default_config_static_selectorELNS0_4arch9wavefront6targetE0EEEvSP_,comdat
	.protected	_ZN7rocprim17ROCPRIM_400000_NS6detail17trampoline_kernelINS0_14default_configENS1_21merge_config_selectorIiNS0_10empty_typeEEEZNS1_10merge_implIS3_N6thrust23THRUST_200600_302600_NS6detail15normal_iteratorINS9_10device_ptrIKiEEEESF_NSB_INSC_IiEEEEPS5_SI_SI_NS9_4lessIiEEEE10hipError_tPvRmT0_T1_T2_T3_T4_T5_mmT6_P12ihipStream_tbEUlT_E_NS1_11comp_targetILNS1_3genE4ELNS1_11target_archE910ELNS1_3gpuE8ELNS1_3repE0EEENS1_30default_config_static_selectorELNS0_4arch9wavefront6targetE0EEEvSP_ ; -- Begin function _ZN7rocprim17ROCPRIM_400000_NS6detail17trampoline_kernelINS0_14default_configENS1_21merge_config_selectorIiNS0_10empty_typeEEEZNS1_10merge_implIS3_N6thrust23THRUST_200600_302600_NS6detail15normal_iteratorINS9_10device_ptrIKiEEEESF_NSB_INSC_IiEEEEPS5_SI_SI_NS9_4lessIiEEEE10hipError_tPvRmT0_T1_T2_T3_T4_T5_mmT6_P12ihipStream_tbEUlT_E_NS1_11comp_targetILNS1_3genE4ELNS1_11target_archE910ELNS1_3gpuE8ELNS1_3repE0EEENS1_30default_config_static_selectorELNS0_4arch9wavefront6targetE0EEEvSP_
	.globl	_ZN7rocprim17ROCPRIM_400000_NS6detail17trampoline_kernelINS0_14default_configENS1_21merge_config_selectorIiNS0_10empty_typeEEEZNS1_10merge_implIS3_N6thrust23THRUST_200600_302600_NS6detail15normal_iteratorINS9_10device_ptrIKiEEEESF_NSB_INSC_IiEEEEPS5_SI_SI_NS9_4lessIiEEEE10hipError_tPvRmT0_T1_T2_T3_T4_T5_mmT6_P12ihipStream_tbEUlT_E_NS1_11comp_targetILNS1_3genE4ELNS1_11target_archE910ELNS1_3gpuE8ELNS1_3repE0EEENS1_30default_config_static_selectorELNS0_4arch9wavefront6targetE0EEEvSP_
	.p2align	8
	.type	_ZN7rocprim17ROCPRIM_400000_NS6detail17trampoline_kernelINS0_14default_configENS1_21merge_config_selectorIiNS0_10empty_typeEEEZNS1_10merge_implIS3_N6thrust23THRUST_200600_302600_NS6detail15normal_iteratorINS9_10device_ptrIKiEEEESF_NSB_INSC_IiEEEEPS5_SI_SI_NS9_4lessIiEEEE10hipError_tPvRmT0_T1_T2_T3_T4_T5_mmT6_P12ihipStream_tbEUlT_E_NS1_11comp_targetILNS1_3genE4ELNS1_11target_archE910ELNS1_3gpuE8ELNS1_3repE0EEENS1_30default_config_static_selectorELNS0_4arch9wavefront6targetE0EEEvSP_,@function
_ZN7rocprim17ROCPRIM_400000_NS6detail17trampoline_kernelINS0_14default_configENS1_21merge_config_selectorIiNS0_10empty_typeEEEZNS1_10merge_implIS3_N6thrust23THRUST_200600_302600_NS6detail15normal_iteratorINS9_10device_ptrIKiEEEESF_NSB_INSC_IiEEEEPS5_SI_SI_NS9_4lessIiEEEE10hipError_tPvRmT0_T1_T2_T3_T4_T5_mmT6_P12ihipStream_tbEUlT_E_NS1_11comp_targetILNS1_3genE4ELNS1_11target_archE910ELNS1_3gpuE8ELNS1_3repE0EEENS1_30default_config_static_selectorELNS0_4arch9wavefront6targetE0EEEvSP_: ; @_ZN7rocprim17ROCPRIM_400000_NS6detail17trampoline_kernelINS0_14default_configENS1_21merge_config_selectorIiNS0_10empty_typeEEEZNS1_10merge_implIS3_N6thrust23THRUST_200600_302600_NS6detail15normal_iteratorINS9_10device_ptrIKiEEEESF_NSB_INSC_IiEEEEPS5_SI_SI_NS9_4lessIiEEEE10hipError_tPvRmT0_T1_T2_T3_T4_T5_mmT6_P12ihipStream_tbEUlT_E_NS1_11comp_targetILNS1_3genE4ELNS1_11target_archE910ELNS1_3gpuE8ELNS1_3repE0EEENS1_30default_config_static_selectorELNS0_4arch9wavefront6targetE0EEEvSP_
; %bb.0:
	.section	.rodata,"a",@progbits
	.p2align	6, 0x0
	.amdhsa_kernel _ZN7rocprim17ROCPRIM_400000_NS6detail17trampoline_kernelINS0_14default_configENS1_21merge_config_selectorIiNS0_10empty_typeEEEZNS1_10merge_implIS3_N6thrust23THRUST_200600_302600_NS6detail15normal_iteratorINS9_10device_ptrIKiEEEESF_NSB_INSC_IiEEEEPS5_SI_SI_NS9_4lessIiEEEE10hipError_tPvRmT0_T1_T2_T3_T4_T5_mmT6_P12ihipStream_tbEUlT_E_NS1_11comp_targetILNS1_3genE4ELNS1_11target_archE910ELNS1_3gpuE8ELNS1_3repE0EEENS1_30default_config_static_selectorELNS0_4arch9wavefront6targetE0EEEvSP_
		.amdhsa_group_segment_fixed_size 0
		.amdhsa_private_segment_fixed_size 0
		.amdhsa_kernarg_size 48
		.amdhsa_user_sgpr_count 15
		.amdhsa_user_sgpr_dispatch_ptr 0
		.amdhsa_user_sgpr_queue_ptr 0
		.amdhsa_user_sgpr_kernarg_segment_ptr 1
		.amdhsa_user_sgpr_dispatch_id 0
		.amdhsa_user_sgpr_private_segment_size 0
		.amdhsa_wavefront_size32 1
		.amdhsa_uses_dynamic_stack 0
		.amdhsa_enable_private_segment 0
		.amdhsa_system_sgpr_workgroup_id_x 1
		.amdhsa_system_sgpr_workgroup_id_y 0
		.amdhsa_system_sgpr_workgroup_id_z 0
		.amdhsa_system_sgpr_workgroup_info 0
		.amdhsa_system_vgpr_workitem_id 0
		.amdhsa_next_free_vgpr 1
		.amdhsa_next_free_sgpr 1
		.amdhsa_reserve_vcc 0
		.amdhsa_float_round_mode_32 0
		.amdhsa_float_round_mode_16_64 0
		.amdhsa_float_denorm_mode_32 3
		.amdhsa_float_denorm_mode_16_64 3
		.amdhsa_dx10_clamp 1
		.amdhsa_ieee_mode 1
		.amdhsa_fp16_overflow 0
		.amdhsa_workgroup_processor_mode 1
		.amdhsa_memory_ordered 1
		.amdhsa_forward_progress 0
		.amdhsa_shared_vgpr_count 0
		.amdhsa_exception_fp_ieee_invalid_op 0
		.amdhsa_exception_fp_denorm_src 0
		.amdhsa_exception_fp_ieee_div_zero 0
		.amdhsa_exception_fp_ieee_overflow 0
		.amdhsa_exception_fp_ieee_underflow 0
		.amdhsa_exception_fp_ieee_inexact 0
		.amdhsa_exception_int_div_zero 0
	.end_amdhsa_kernel
	.section	.text._ZN7rocprim17ROCPRIM_400000_NS6detail17trampoline_kernelINS0_14default_configENS1_21merge_config_selectorIiNS0_10empty_typeEEEZNS1_10merge_implIS3_N6thrust23THRUST_200600_302600_NS6detail15normal_iteratorINS9_10device_ptrIKiEEEESF_NSB_INSC_IiEEEEPS5_SI_SI_NS9_4lessIiEEEE10hipError_tPvRmT0_T1_T2_T3_T4_T5_mmT6_P12ihipStream_tbEUlT_E_NS1_11comp_targetILNS1_3genE4ELNS1_11target_archE910ELNS1_3gpuE8ELNS1_3repE0EEENS1_30default_config_static_selectorELNS0_4arch9wavefront6targetE0EEEvSP_,"axG",@progbits,_ZN7rocprim17ROCPRIM_400000_NS6detail17trampoline_kernelINS0_14default_configENS1_21merge_config_selectorIiNS0_10empty_typeEEEZNS1_10merge_implIS3_N6thrust23THRUST_200600_302600_NS6detail15normal_iteratorINS9_10device_ptrIKiEEEESF_NSB_INSC_IiEEEEPS5_SI_SI_NS9_4lessIiEEEE10hipError_tPvRmT0_T1_T2_T3_T4_T5_mmT6_P12ihipStream_tbEUlT_E_NS1_11comp_targetILNS1_3genE4ELNS1_11target_archE910ELNS1_3gpuE8ELNS1_3repE0EEENS1_30default_config_static_selectorELNS0_4arch9wavefront6targetE0EEEvSP_,comdat
.Lfunc_end3:
	.size	_ZN7rocprim17ROCPRIM_400000_NS6detail17trampoline_kernelINS0_14default_configENS1_21merge_config_selectorIiNS0_10empty_typeEEEZNS1_10merge_implIS3_N6thrust23THRUST_200600_302600_NS6detail15normal_iteratorINS9_10device_ptrIKiEEEESF_NSB_INSC_IiEEEEPS5_SI_SI_NS9_4lessIiEEEE10hipError_tPvRmT0_T1_T2_T3_T4_T5_mmT6_P12ihipStream_tbEUlT_E_NS1_11comp_targetILNS1_3genE4ELNS1_11target_archE910ELNS1_3gpuE8ELNS1_3repE0EEENS1_30default_config_static_selectorELNS0_4arch9wavefront6targetE0EEEvSP_, .Lfunc_end3-_ZN7rocprim17ROCPRIM_400000_NS6detail17trampoline_kernelINS0_14default_configENS1_21merge_config_selectorIiNS0_10empty_typeEEEZNS1_10merge_implIS3_N6thrust23THRUST_200600_302600_NS6detail15normal_iteratorINS9_10device_ptrIKiEEEESF_NSB_INSC_IiEEEEPS5_SI_SI_NS9_4lessIiEEEE10hipError_tPvRmT0_T1_T2_T3_T4_T5_mmT6_P12ihipStream_tbEUlT_E_NS1_11comp_targetILNS1_3genE4ELNS1_11target_archE910ELNS1_3gpuE8ELNS1_3repE0EEENS1_30default_config_static_selectorELNS0_4arch9wavefront6targetE0EEEvSP_
                                        ; -- End function
	.section	.AMDGPU.csdata,"",@progbits
; Kernel info:
; codeLenInByte = 0
; NumSgprs: 0
; NumVgprs: 0
; ScratchSize: 0
; MemoryBound: 0
; FloatMode: 240
; IeeeMode: 1
; LDSByteSize: 0 bytes/workgroup (compile time only)
; SGPRBlocks: 0
; VGPRBlocks: 0
; NumSGPRsForWavesPerEU: 1
; NumVGPRsForWavesPerEU: 1
; Occupancy: 16
; WaveLimiterHint : 0
; COMPUTE_PGM_RSRC2:SCRATCH_EN: 0
; COMPUTE_PGM_RSRC2:USER_SGPR: 15
; COMPUTE_PGM_RSRC2:TRAP_HANDLER: 0
; COMPUTE_PGM_RSRC2:TGID_X_EN: 1
; COMPUTE_PGM_RSRC2:TGID_Y_EN: 0
; COMPUTE_PGM_RSRC2:TGID_Z_EN: 0
; COMPUTE_PGM_RSRC2:TIDIG_COMP_CNT: 0
	.section	.text._ZN7rocprim17ROCPRIM_400000_NS6detail17trampoline_kernelINS0_14default_configENS1_21merge_config_selectorIiNS0_10empty_typeEEEZNS1_10merge_implIS3_N6thrust23THRUST_200600_302600_NS6detail15normal_iteratorINS9_10device_ptrIKiEEEESF_NSB_INSC_IiEEEEPS5_SI_SI_NS9_4lessIiEEEE10hipError_tPvRmT0_T1_T2_T3_T4_T5_mmT6_P12ihipStream_tbEUlT_E_NS1_11comp_targetILNS1_3genE3ELNS1_11target_archE908ELNS1_3gpuE7ELNS1_3repE0EEENS1_30default_config_static_selectorELNS0_4arch9wavefront6targetE0EEEvSP_,"axG",@progbits,_ZN7rocprim17ROCPRIM_400000_NS6detail17trampoline_kernelINS0_14default_configENS1_21merge_config_selectorIiNS0_10empty_typeEEEZNS1_10merge_implIS3_N6thrust23THRUST_200600_302600_NS6detail15normal_iteratorINS9_10device_ptrIKiEEEESF_NSB_INSC_IiEEEEPS5_SI_SI_NS9_4lessIiEEEE10hipError_tPvRmT0_T1_T2_T3_T4_T5_mmT6_P12ihipStream_tbEUlT_E_NS1_11comp_targetILNS1_3genE3ELNS1_11target_archE908ELNS1_3gpuE7ELNS1_3repE0EEENS1_30default_config_static_selectorELNS0_4arch9wavefront6targetE0EEEvSP_,comdat
	.protected	_ZN7rocprim17ROCPRIM_400000_NS6detail17trampoline_kernelINS0_14default_configENS1_21merge_config_selectorIiNS0_10empty_typeEEEZNS1_10merge_implIS3_N6thrust23THRUST_200600_302600_NS6detail15normal_iteratorINS9_10device_ptrIKiEEEESF_NSB_INSC_IiEEEEPS5_SI_SI_NS9_4lessIiEEEE10hipError_tPvRmT0_T1_T2_T3_T4_T5_mmT6_P12ihipStream_tbEUlT_E_NS1_11comp_targetILNS1_3genE3ELNS1_11target_archE908ELNS1_3gpuE7ELNS1_3repE0EEENS1_30default_config_static_selectorELNS0_4arch9wavefront6targetE0EEEvSP_ ; -- Begin function _ZN7rocprim17ROCPRIM_400000_NS6detail17trampoline_kernelINS0_14default_configENS1_21merge_config_selectorIiNS0_10empty_typeEEEZNS1_10merge_implIS3_N6thrust23THRUST_200600_302600_NS6detail15normal_iteratorINS9_10device_ptrIKiEEEESF_NSB_INSC_IiEEEEPS5_SI_SI_NS9_4lessIiEEEE10hipError_tPvRmT0_T1_T2_T3_T4_T5_mmT6_P12ihipStream_tbEUlT_E_NS1_11comp_targetILNS1_3genE3ELNS1_11target_archE908ELNS1_3gpuE7ELNS1_3repE0EEENS1_30default_config_static_selectorELNS0_4arch9wavefront6targetE0EEEvSP_
	.globl	_ZN7rocprim17ROCPRIM_400000_NS6detail17trampoline_kernelINS0_14default_configENS1_21merge_config_selectorIiNS0_10empty_typeEEEZNS1_10merge_implIS3_N6thrust23THRUST_200600_302600_NS6detail15normal_iteratorINS9_10device_ptrIKiEEEESF_NSB_INSC_IiEEEEPS5_SI_SI_NS9_4lessIiEEEE10hipError_tPvRmT0_T1_T2_T3_T4_T5_mmT6_P12ihipStream_tbEUlT_E_NS1_11comp_targetILNS1_3genE3ELNS1_11target_archE908ELNS1_3gpuE7ELNS1_3repE0EEENS1_30default_config_static_selectorELNS0_4arch9wavefront6targetE0EEEvSP_
	.p2align	8
	.type	_ZN7rocprim17ROCPRIM_400000_NS6detail17trampoline_kernelINS0_14default_configENS1_21merge_config_selectorIiNS0_10empty_typeEEEZNS1_10merge_implIS3_N6thrust23THRUST_200600_302600_NS6detail15normal_iteratorINS9_10device_ptrIKiEEEESF_NSB_INSC_IiEEEEPS5_SI_SI_NS9_4lessIiEEEE10hipError_tPvRmT0_T1_T2_T3_T4_T5_mmT6_P12ihipStream_tbEUlT_E_NS1_11comp_targetILNS1_3genE3ELNS1_11target_archE908ELNS1_3gpuE7ELNS1_3repE0EEENS1_30default_config_static_selectorELNS0_4arch9wavefront6targetE0EEEvSP_,@function
_ZN7rocprim17ROCPRIM_400000_NS6detail17trampoline_kernelINS0_14default_configENS1_21merge_config_selectorIiNS0_10empty_typeEEEZNS1_10merge_implIS3_N6thrust23THRUST_200600_302600_NS6detail15normal_iteratorINS9_10device_ptrIKiEEEESF_NSB_INSC_IiEEEEPS5_SI_SI_NS9_4lessIiEEEE10hipError_tPvRmT0_T1_T2_T3_T4_T5_mmT6_P12ihipStream_tbEUlT_E_NS1_11comp_targetILNS1_3genE3ELNS1_11target_archE908ELNS1_3gpuE7ELNS1_3repE0EEENS1_30default_config_static_selectorELNS0_4arch9wavefront6targetE0EEEvSP_: ; @_ZN7rocprim17ROCPRIM_400000_NS6detail17trampoline_kernelINS0_14default_configENS1_21merge_config_selectorIiNS0_10empty_typeEEEZNS1_10merge_implIS3_N6thrust23THRUST_200600_302600_NS6detail15normal_iteratorINS9_10device_ptrIKiEEEESF_NSB_INSC_IiEEEEPS5_SI_SI_NS9_4lessIiEEEE10hipError_tPvRmT0_T1_T2_T3_T4_T5_mmT6_P12ihipStream_tbEUlT_E_NS1_11comp_targetILNS1_3genE3ELNS1_11target_archE908ELNS1_3gpuE7ELNS1_3repE0EEENS1_30default_config_static_selectorELNS0_4arch9wavefront6targetE0EEEvSP_
; %bb.0:
	.section	.rodata,"a",@progbits
	.p2align	6, 0x0
	.amdhsa_kernel _ZN7rocprim17ROCPRIM_400000_NS6detail17trampoline_kernelINS0_14default_configENS1_21merge_config_selectorIiNS0_10empty_typeEEEZNS1_10merge_implIS3_N6thrust23THRUST_200600_302600_NS6detail15normal_iteratorINS9_10device_ptrIKiEEEESF_NSB_INSC_IiEEEEPS5_SI_SI_NS9_4lessIiEEEE10hipError_tPvRmT0_T1_T2_T3_T4_T5_mmT6_P12ihipStream_tbEUlT_E_NS1_11comp_targetILNS1_3genE3ELNS1_11target_archE908ELNS1_3gpuE7ELNS1_3repE0EEENS1_30default_config_static_selectorELNS0_4arch9wavefront6targetE0EEEvSP_
		.amdhsa_group_segment_fixed_size 0
		.amdhsa_private_segment_fixed_size 0
		.amdhsa_kernarg_size 48
		.amdhsa_user_sgpr_count 15
		.amdhsa_user_sgpr_dispatch_ptr 0
		.amdhsa_user_sgpr_queue_ptr 0
		.amdhsa_user_sgpr_kernarg_segment_ptr 1
		.amdhsa_user_sgpr_dispatch_id 0
		.amdhsa_user_sgpr_private_segment_size 0
		.amdhsa_wavefront_size32 1
		.amdhsa_uses_dynamic_stack 0
		.amdhsa_enable_private_segment 0
		.amdhsa_system_sgpr_workgroup_id_x 1
		.amdhsa_system_sgpr_workgroup_id_y 0
		.amdhsa_system_sgpr_workgroup_id_z 0
		.amdhsa_system_sgpr_workgroup_info 0
		.amdhsa_system_vgpr_workitem_id 0
		.amdhsa_next_free_vgpr 1
		.amdhsa_next_free_sgpr 1
		.amdhsa_reserve_vcc 0
		.amdhsa_float_round_mode_32 0
		.amdhsa_float_round_mode_16_64 0
		.amdhsa_float_denorm_mode_32 3
		.amdhsa_float_denorm_mode_16_64 3
		.amdhsa_dx10_clamp 1
		.amdhsa_ieee_mode 1
		.amdhsa_fp16_overflow 0
		.amdhsa_workgroup_processor_mode 1
		.amdhsa_memory_ordered 1
		.amdhsa_forward_progress 0
		.amdhsa_shared_vgpr_count 0
		.amdhsa_exception_fp_ieee_invalid_op 0
		.amdhsa_exception_fp_denorm_src 0
		.amdhsa_exception_fp_ieee_div_zero 0
		.amdhsa_exception_fp_ieee_overflow 0
		.amdhsa_exception_fp_ieee_underflow 0
		.amdhsa_exception_fp_ieee_inexact 0
		.amdhsa_exception_int_div_zero 0
	.end_amdhsa_kernel
	.section	.text._ZN7rocprim17ROCPRIM_400000_NS6detail17trampoline_kernelINS0_14default_configENS1_21merge_config_selectorIiNS0_10empty_typeEEEZNS1_10merge_implIS3_N6thrust23THRUST_200600_302600_NS6detail15normal_iteratorINS9_10device_ptrIKiEEEESF_NSB_INSC_IiEEEEPS5_SI_SI_NS9_4lessIiEEEE10hipError_tPvRmT0_T1_T2_T3_T4_T5_mmT6_P12ihipStream_tbEUlT_E_NS1_11comp_targetILNS1_3genE3ELNS1_11target_archE908ELNS1_3gpuE7ELNS1_3repE0EEENS1_30default_config_static_selectorELNS0_4arch9wavefront6targetE0EEEvSP_,"axG",@progbits,_ZN7rocprim17ROCPRIM_400000_NS6detail17trampoline_kernelINS0_14default_configENS1_21merge_config_selectorIiNS0_10empty_typeEEEZNS1_10merge_implIS3_N6thrust23THRUST_200600_302600_NS6detail15normal_iteratorINS9_10device_ptrIKiEEEESF_NSB_INSC_IiEEEEPS5_SI_SI_NS9_4lessIiEEEE10hipError_tPvRmT0_T1_T2_T3_T4_T5_mmT6_P12ihipStream_tbEUlT_E_NS1_11comp_targetILNS1_3genE3ELNS1_11target_archE908ELNS1_3gpuE7ELNS1_3repE0EEENS1_30default_config_static_selectorELNS0_4arch9wavefront6targetE0EEEvSP_,comdat
.Lfunc_end4:
	.size	_ZN7rocprim17ROCPRIM_400000_NS6detail17trampoline_kernelINS0_14default_configENS1_21merge_config_selectorIiNS0_10empty_typeEEEZNS1_10merge_implIS3_N6thrust23THRUST_200600_302600_NS6detail15normal_iteratorINS9_10device_ptrIKiEEEESF_NSB_INSC_IiEEEEPS5_SI_SI_NS9_4lessIiEEEE10hipError_tPvRmT0_T1_T2_T3_T4_T5_mmT6_P12ihipStream_tbEUlT_E_NS1_11comp_targetILNS1_3genE3ELNS1_11target_archE908ELNS1_3gpuE7ELNS1_3repE0EEENS1_30default_config_static_selectorELNS0_4arch9wavefront6targetE0EEEvSP_, .Lfunc_end4-_ZN7rocprim17ROCPRIM_400000_NS6detail17trampoline_kernelINS0_14default_configENS1_21merge_config_selectorIiNS0_10empty_typeEEEZNS1_10merge_implIS3_N6thrust23THRUST_200600_302600_NS6detail15normal_iteratorINS9_10device_ptrIKiEEEESF_NSB_INSC_IiEEEEPS5_SI_SI_NS9_4lessIiEEEE10hipError_tPvRmT0_T1_T2_T3_T4_T5_mmT6_P12ihipStream_tbEUlT_E_NS1_11comp_targetILNS1_3genE3ELNS1_11target_archE908ELNS1_3gpuE7ELNS1_3repE0EEENS1_30default_config_static_selectorELNS0_4arch9wavefront6targetE0EEEvSP_
                                        ; -- End function
	.section	.AMDGPU.csdata,"",@progbits
; Kernel info:
; codeLenInByte = 0
; NumSgprs: 0
; NumVgprs: 0
; ScratchSize: 0
; MemoryBound: 0
; FloatMode: 240
; IeeeMode: 1
; LDSByteSize: 0 bytes/workgroup (compile time only)
; SGPRBlocks: 0
; VGPRBlocks: 0
; NumSGPRsForWavesPerEU: 1
; NumVGPRsForWavesPerEU: 1
; Occupancy: 16
; WaveLimiterHint : 0
; COMPUTE_PGM_RSRC2:SCRATCH_EN: 0
; COMPUTE_PGM_RSRC2:USER_SGPR: 15
; COMPUTE_PGM_RSRC2:TRAP_HANDLER: 0
; COMPUTE_PGM_RSRC2:TGID_X_EN: 1
; COMPUTE_PGM_RSRC2:TGID_Y_EN: 0
; COMPUTE_PGM_RSRC2:TGID_Z_EN: 0
; COMPUTE_PGM_RSRC2:TIDIG_COMP_CNT: 0
	.section	.text._ZN7rocprim17ROCPRIM_400000_NS6detail17trampoline_kernelINS0_14default_configENS1_21merge_config_selectorIiNS0_10empty_typeEEEZNS1_10merge_implIS3_N6thrust23THRUST_200600_302600_NS6detail15normal_iteratorINS9_10device_ptrIKiEEEESF_NSB_INSC_IiEEEEPS5_SI_SI_NS9_4lessIiEEEE10hipError_tPvRmT0_T1_T2_T3_T4_T5_mmT6_P12ihipStream_tbEUlT_E_NS1_11comp_targetILNS1_3genE2ELNS1_11target_archE906ELNS1_3gpuE6ELNS1_3repE0EEENS1_30default_config_static_selectorELNS0_4arch9wavefront6targetE0EEEvSP_,"axG",@progbits,_ZN7rocprim17ROCPRIM_400000_NS6detail17trampoline_kernelINS0_14default_configENS1_21merge_config_selectorIiNS0_10empty_typeEEEZNS1_10merge_implIS3_N6thrust23THRUST_200600_302600_NS6detail15normal_iteratorINS9_10device_ptrIKiEEEESF_NSB_INSC_IiEEEEPS5_SI_SI_NS9_4lessIiEEEE10hipError_tPvRmT0_T1_T2_T3_T4_T5_mmT6_P12ihipStream_tbEUlT_E_NS1_11comp_targetILNS1_3genE2ELNS1_11target_archE906ELNS1_3gpuE6ELNS1_3repE0EEENS1_30default_config_static_selectorELNS0_4arch9wavefront6targetE0EEEvSP_,comdat
	.protected	_ZN7rocprim17ROCPRIM_400000_NS6detail17trampoline_kernelINS0_14default_configENS1_21merge_config_selectorIiNS0_10empty_typeEEEZNS1_10merge_implIS3_N6thrust23THRUST_200600_302600_NS6detail15normal_iteratorINS9_10device_ptrIKiEEEESF_NSB_INSC_IiEEEEPS5_SI_SI_NS9_4lessIiEEEE10hipError_tPvRmT0_T1_T2_T3_T4_T5_mmT6_P12ihipStream_tbEUlT_E_NS1_11comp_targetILNS1_3genE2ELNS1_11target_archE906ELNS1_3gpuE6ELNS1_3repE0EEENS1_30default_config_static_selectorELNS0_4arch9wavefront6targetE0EEEvSP_ ; -- Begin function _ZN7rocprim17ROCPRIM_400000_NS6detail17trampoline_kernelINS0_14default_configENS1_21merge_config_selectorIiNS0_10empty_typeEEEZNS1_10merge_implIS3_N6thrust23THRUST_200600_302600_NS6detail15normal_iteratorINS9_10device_ptrIKiEEEESF_NSB_INSC_IiEEEEPS5_SI_SI_NS9_4lessIiEEEE10hipError_tPvRmT0_T1_T2_T3_T4_T5_mmT6_P12ihipStream_tbEUlT_E_NS1_11comp_targetILNS1_3genE2ELNS1_11target_archE906ELNS1_3gpuE6ELNS1_3repE0EEENS1_30default_config_static_selectorELNS0_4arch9wavefront6targetE0EEEvSP_
	.globl	_ZN7rocprim17ROCPRIM_400000_NS6detail17trampoline_kernelINS0_14default_configENS1_21merge_config_selectorIiNS0_10empty_typeEEEZNS1_10merge_implIS3_N6thrust23THRUST_200600_302600_NS6detail15normal_iteratorINS9_10device_ptrIKiEEEESF_NSB_INSC_IiEEEEPS5_SI_SI_NS9_4lessIiEEEE10hipError_tPvRmT0_T1_T2_T3_T4_T5_mmT6_P12ihipStream_tbEUlT_E_NS1_11comp_targetILNS1_3genE2ELNS1_11target_archE906ELNS1_3gpuE6ELNS1_3repE0EEENS1_30default_config_static_selectorELNS0_4arch9wavefront6targetE0EEEvSP_
	.p2align	8
	.type	_ZN7rocprim17ROCPRIM_400000_NS6detail17trampoline_kernelINS0_14default_configENS1_21merge_config_selectorIiNS0_10empty_typeEEEZNS1_10merge_implIS3_N6thrust23THRUST_200600_302600_NS6detail15normal_iteratorINS9_10device_ptrIKiEEEESF_NSB_INSC_IiEEEEPS5_SI_SI_NS9_4lessIiEEEE10hipError_tPvRmT0_T1_T2_T3_T4_T5_mmT6_P12ihipStream_tbEUlT_E_NS1_11comp_targetILNS1_3genE2ELNS1_11target_archE906ELNS1_3gpuE6ELNS1_3repE0EEENS1_30default_config_static_selectorELNS0_4arch9wavefront6targetE0EEEvSP_,@function
_ZN7rocprim17ROCPRIM_400000_NS6detail17trampoline_kernelINS0_14default_configENS1_21merge_config_selectorIiNS0_10empty_typeEEEZNS1_10merge_implIS3_N6thrust23THRUST_200600_302600_NS6detail15normal_iteratorINS9_10device_ptrIKiEEEESF_NSB_INSC_IiEEEEPS5_SI_SI_NS9_4lessIiEEEE10hipError_tPvRmT0_T1_T2_T3_T4_T5_mmT6_P12ihipStream_tbEUlT_E_NS1_11comp_targetILNS1_3genE2ELNS1_11target_archE906ELNS1_3gpuE6ELNS1_3repE0EEENS1_30default_config_static_selectorELNS0_4arch9wavefront6targetE0EEEvSP_: ; @_ZN7rocprim17ROCPRIM_400000_NS6detail17trampoline_kernelINS0_14default_configENS1_21merge_config_selectorIiNS0_10empty_typeEEEZNS1_10merge_implIS3_N6thrust23THRUST_200600_302600_NS6detail15normal_iteratorINS9_10device_ptrIKiEEEESF_NSB_INSC_IiEEEEPS5_SI_SI_NS9_4lessIiEEEE10hipError_tPvRmT0_T1_T2_T3_T4_T5_mmT6_P12ihipStream_tbEUlT_E_NS1_11comp_targetILNS1_3genE2ELNS1_11target_archE906ELNS1_3gpuE6ELNS1_3repE0EEENS1_30default_config_static_selectorELNS0_4arch9wavefront6targetE0EEEvSP_
; %bb.0:
	.section	.rodata,"a",@progbits
	.p2align	6, 0x0
	.amdhsa_kernel _ZN7rocprim17ROCPRIM_400000_NS6detail17trampoline_kernelINS0_14default_configENS1_21merge_config_selectorIiNS0_10empty_typeEEEZNS1_10merge_implIS3_N6thrust23THRUST_200600_302600_NS6detail15normal_iteratorINS9_10device_ptrIKiEEEESF_NSB_INSC_IiEEEEPS5_SI_SI_NS9_4lessIiEEEE10hipError_tPvRmT0_T1_T2_T3_T4_T5_mmT6_P12ihipStream_tbEUlT_E_NS1_11comp_targetILNS1_3genE2ELNS1_11target_archE906ELNS1_3gpuE6ELNS1_3repE0EEENS1_30default_config_static_selectorELNS0_4arch9wavefront6targetE0EEEvSP_
		.amdhsa_group_segment_fixed_size 0
		.amdhsa_private_segment_fixed_size 0
		.amdhsa_kernarg_size 48
		.amdhsa_user_sgpr_count 15
		.amdhsa_user_sgpr_dispatch_ptr 0
		.amdhsa_user_sgpr_queue_ptr 0
		.amdhsa_user_sgpr_kernarg_segment_ptr 1
		.amdhsa_user_sgpr_dispatch_id 0
		.amdhsa_user_sgpr_private_segment_size 0
		.amdhsa_wavefront_size32 1
		.amdhsa_uses_dynamic_stack 0
		.amdhsa_enable_private_segment 0
		.amdhsa_system_sgpr_workgroup_id_x 1
		.amdhsa_system_sgpr_workgroup_id_y 0
		.amdhsa_system_sgpr_workgroup_id_z 0
		.amdhsa_system_sgpr_workgroup_info 0
		.amdhsa_system_vgpr_workitem_id 0
		.amdhsa_next_free_vgpr 1
		.amdhsa_next_free_sgpr 1
		.amdhsa_reserve_vcc 0
		.amdhsa_float_round_mode_32 0
		.amdhsa_float_round_mode_16_64 0
		.amdhsa_float_denorm_mode_32 3
		.amdhsa_float_denorm_mode_16_64 3
		.amdhsa_dx10_clamp 1
		.amdhsa_ieee_mode 1
		.amdhsa_fp16_overflow 0
		.amdhsa_workgroup_processor_mode 1
		.amdhsa_memory_ordered 1
		.amdhsa_forward_progress 0
		.amdhsa_shared_vgpr_count 0
		.amdhsa_exception_fp_ieee_invalid_op 0
		.amdhsa_exception_fp_denorm_src 0
		.amdhsa_exception_fp_ieee_div_zero 0
		.amdhsa_exception_fp_ieee_overflow 0
		.amdhsa_exception_fp_ieee_underflow 0
		.amdhsa_exception_fp_ieee_inexact 0
		.amdhsa_exception_int_div_zero 0
	.end_amdhsa_kernel
	.section	.text._ZN7rocprim17ROCPRIM_400000_NS6detail17trampoline_kernelINS0_14default_configENS1_21merge_config_selectorIiNS0_10empty_typeEEEZNS1_10merge_implIS3_N6thrust23THRUST_200600_302600_NS6detail15normal_iteratorINS9_10device_ptrIKiEEEESF_NSB_INSC_IiEEEEPS5_SI_SI_NS9_4lessIiEEEE10hipError_tPvRmT0_T1_T2_T3_T4_T5_mmT6_P12ihipStream_tbEUlT_E_NS1_11comp_targetILNS1_3genE2ELNS1_11target_archE906ELNS1_3gpuE6ELNS1_3repE0EEENS1_30default_config_static_selectorELNS0_4arch9wavefront6targetE0EEEvSP_,"axG",@progbits,_ZN7rocprim17ROCPRIM_400000_NS6detail17trampoline_kernelINS0_14default_configENS1_21merge_config_selectorIiNS0_10empty_typeEEEZNS1_10merge_implIS3_N6thrust23THRUST_200600_302600_NS6detail15normal_iteratorINS9_10device_ptrIKiEEEESF_NSB_INSC_IiEEEEPS5_SI_SI_NS9_4lessIiEEEE10hipError_tPvRmT0_T1_T2_T3_T4_T5_mmT6_P12ihipStream_tbEUlT_E_NS1_11comp_targetILNS1_3genE2ELNS1_11target_archE906ELNS1_3gpuE6ELNS1_3repE0EEENS1_30default_config_static_selectorELNS0_4arch9wavefront6targetE0EEEvSP_,comdat
.Lfunc_end5:
	.size	_ZN7rocprim17ROCPRIM_400000_NS6detail17trampoline_kernelINS0_14default_configENS1_21merge_config_selectorIiNS0_10empty_typeEEEZNS1_10merge_implIS3_N6thrust23THRUST_200600_302600_NS6detail15normal_iteratorINS9_10device_ptrIKiEEEESF_NSB_INSC_IiEEEEPS5_SI_SI_NS9_4lessIiEEEE10hipError_tPvRmT0_T1_T2_T3_T4_T5_mmT6_P12ihipStream_tbEUlT_E_NS1_11comp_targetILNS1_3genE2ELNS1_11target_archE906ELNS1_3gpuE6ELNS1_3repE0EEENS1_30default_config_static_selectorELNS0_4arch9wavefront6targetE0EEEvSP_, .Lfunc_end5-_ZN7rocprim17ROCPRIM_400000_NS6detail17trampoline_kernelINS0_14default_configENS1_21merge_config_selectorIiNS0_10empty_typeEEEZNS1_10merge_implIS3_N6thrust23THRUST_200600_302600_NS6detail15normal_iteratorINS9_10device_ptrIKiEEEESF_NSB_INSC_IiEEEEPS5_SI_SI_NS9_4lessIiEEEE10hipError_tPvRmT0_T1_T2_T3_T4_T5_mmT6_P12ihipStream_tbEUlT_E_NS1_11comp_targetILNS1_3genE2ELNS1_11target_archE906ELNS1_3gpuE6ELNS1_3repE0EEENS1_30default_config_static_selectorELNS0_4arch9wavefront6targetE0EEEvSP_
                                        ; -- End function
	.section	.AMDGPU.csdata,"",@progbits
; Kernel info:
; codeLenInByte = 0
; NumSgprs: 0
; NumVgprs: 0
; ScratchSize: 0
; MemoryBound: 0
; FloatMode: 240
; IeeeMode: 1
; LDSByteSize: 0 bytes/workgroup (compile time only)
; SGPRBlocks: 0
; VGPRBlocks: 0
; NumSGPRsForWavesPerEU: 1
; NumVGPRsForWavesPerEU: 1
; Occupancy: 16
; WaveLimiterHint : 0
; COMPUTE_PGM_RSRC2:SCRATCH_EN: 0
; COMPUTE_PGM_RSRC2:USER_SGPR: 15
; COMPUTE_PGM_RSRC2:TRAP_HANDLER: 0
; COMPUTE_PGM_RSRC2:TGID_X_EN: 1
; COMPUTE_PGM_RSRC2:TGID_Y_EN: 0
; COMPUTE_PGM_RSRC2:TGID_Z_EN: 0
; COMPUTE_PGM_RSRC2:TIDIG_COMP_CNT: 0
	.section	.text._ZN7rocprim17ROCPRIM_400000_NS6detail17trampoline_kernelINS0_14default_configENS1_21merge_config_selectorIiNS0_10empty_typeEEEZNS1_10merge_implIS3_N6thrust23THRUST_200600_302600_NS6detail15normal_iteratorINS9_10device_ptrIKiEEEESF_NSB_INSC_IiEEEEPS5_SI_SI_NS9_4lessIiEEEE10hipError_tPvRmT0_T1_T2_T3_T4_T5_mmT6_P12ihipStream_tbEUlT_E_NS1_11comp_targetILNS1_3genE10ELNS1_11target_archE1201ELNS1_3gpuE5ELNS1_3repE0EEENS1_30default_config_static_selectorELNS0_4arch9wavefront6targetE0EEEvSP_,"axG",@progbits,_ZN7rocprim17ROCPRIM_400000_NS6detail17trampoline_kernelINS0_14default_configENS1_21merge_config_selectorIiNS0_10empty_typeEEEZNS1_10merge_implIS3_N6thrust23THRUST_200600_302600_NS6detail15normal_iteratorINS9_10device_ptrIKiEEEESF_NSB_INSC_IiEEEEPS5_SI_SI_NS9_4lessIiEEEE10hipError_tPvRmT0_T1_T2_T3_T4_T5_mmT6_P12ihipStream_tbEUlT_E_NS1_11comp_targetILNS1_3genE10ELNS1_11target_archE1201ELNS1_3gpuE5ELNS1_3repE0EEENS1_30default_config_static_selectorELNS0_4arch9wavefront6targetE0EEEvSP_,comdat
	.protected	_ZN7rocprim17ROCPRIM_400000_NS6detail17trampoline_kernelINS0_14default_configENS1_21merge_config_selectorIiNS0_10empty_typeEEEZNS1_10merge_implIS3_N6thrust23THRUST_200600_302600_NS6detail15normal_iteratorINS9_10device_ptrIKiEEEESF_NSB_INSC_IiEEEEPS5_SI_SI_NS9_4lessIiEEEE10hipError_tPvRmT0_T1_T2_T3_T4_T5_mmT6_P12ihipStream_tbEUlT_E_NS1_11comp_targetILNS1_3genE10ELNS1_11target_archE1201ELNS1_3gpuE5ELNS1_3repE0EEENS1_30default_config_static_selectorELNS0_4arch9wavefront6targetE0EEEvSP_ ; -- Begin function _ZN7rocprim17ROCPRIM_400000_NS6detail17trampoline_kernelINS0_14default_configENS1_21merge_config_selectorIiNS0_10empty_typeEEEZNS1_10merge_implIS3_N6thrust23THRUST_200600_302600_NS6detail15normal_iteratorINS9_10device_ptrIKiEEEESF_NSB_INSC_IiEEEEPS5_SI_SI_NS9_4lessIiEEEE10hipError_tPvRmT0_T1_T2_T3_T4_T5_mmT6_P12ihipStream_tbEUlT_E_NS1_11comp_targetILNS1_3genE10ELNS1_11target_archE1201ELNS1_3gpuE5ELNS1_3repE0EEENS1_30default_config_static_selectorELNS0_4arch9wavefront6targetE0EEEvSP_
	.globl	_ZN7rocprim17ROCPRIM_400000_NS6detail17trampoline_kernelINS0_14default_configENS1_21merge_config_selectorIiNS0_10empty_typeEEEZNS1_10merge_implIS3_N6thrust23THRUST_200600_302600_NS6detail15normal_iteratorINS9_10device_ptrIKiEEEESF_NSB_INSC_IiEEEEPS5_SI_SI_NS9_4lessIiEEEE10hipError_tPvRmT0_T1_T2_T3_T4_T5_mmT6_P12ihipStream_tbEUlT_E_NS1_11comp_targetILNS1_3genE10ELNS1_11target_archE1201ELNS1_3gpuE5ELNS1_3repE0EEENS1_30default_config_static_selectorELNS0_4arch9wavefront6targetE0EEEvSP_
	.p2align	8
	.type	_ZN7rocprim17ROCPRIM_400000_NS6detail17trampoline_kernelINS0_14default_configENS1_21merge_config_selectorIiNS0_10empty_typeEEEZNS1_10merge_implIS3_N6thrust23THRUST_200600_302600_NS6detail15normal_iteratorINS9_10device_ptrIKiEEEESF_NSB_INSC_IiEEEEPS5_SI_SI_NS9_4lessIiEEEE10hipError_tPvRmT0_T1_T2_T3_T4_T5_mmT6_P12ihipStream_tbEUlT_E_NS1_11comp_targetILNS1_3genE10ELNS1_11target_archE1201ELNS1_3gpuE5ELNS1_3repE0EEENS1_30default_config_static_selectorELNS0_4arch9wavefront6targetE0EEEvSP_,@function
_ZN7rocprim17ROCPRIM_400000_NS6detail17trampoline_kernelINS0_14default_configENS1_21merge_config_selectorIiNS0_10empty_typeEEEZNS1_10merge_implIS3_N6thrust23THRUST_200600_302600_NS6detail15normal_iteratorINS9_10device_ptrIKiEEEESF_NSB_INSC_IiEEEEPS5_SI_SI_NS9_4lessIiEEEE10hipError_tPvRmT0_T1_T2_T3_T4_T5_mmT6_P12ihipStream_tbEUlT_E_NS1_11comp_targetILNS1_3genE10ELNS1_11target_archE1201ELNS1_3gpuE5ELNS1_3repE0EEENS1_30default_config_static_selectorELNS0_4arch9wavefront6targetE0EEEvSP_: ; @_ZN7rocprim17ROCPRIM_400000_NS6detail17trampoline_kernelINS0_14default_configENS1_21merge_config_selectorIiNS0_10empty_typeEEEZNS1_10merge_implIS3_N6thrust23THRUST_200600_302600_NS6detail15normal_iteratorINS9_10device_ptrIKiEEEESF_NSB_INSC_IiEEEEPS5_SI_SI_NS9_4lessIiEEEE10hipError_tPvRmT0_T1_T2_T3_T4_T5_mmT6_P12ihipStream_tbEUlT_E_NS1_11comp_targetILNS1_3genE10ELNS1_11target_archE1201ELNS1_3gpuE5ELNS1_3repE0EEENS1_30default_config_static_selectorELNS0_4arch9wavefront6targetE0EEEvSP_
; %bb.0:
	.section	.rodata,"a",@progbits
	.p2align	6, 0x0
	.amdhsa_kernel _ZN7rocprim17ROCPRIM_400000_NS6detail17trampoline_kernelINS0_14default_configENS1_21merge_config_selectorIiNS0_10empty_typeEEEZNS1_10merge_implIS3_N6thrust23THRUST_200600_302600_NS6detail15normal_iteratorINS9_10device_ptrIKiEEEESF_NSB_INSC_IiEEEEPS5_SI_SI_NS9_4lessIiEEEE10hipError_tPvRmT0_T1_T2_T3_T4_T5_mmT6_P12ihipStream_tbEUlT_E_NS1_11comp_targetILNS1_3genE10ELNS1_11target_archE1201ELNS1_3gpuE5ELNS1_3repE0EEENS1_30default_config_static_selectorELNS0_4arch9wavefront6targetE0EEEvSP_
		.amdhsa_group_segment_fixed_size 0
		.amdhsa_private_segment_fixed_size 0
		.amdhsa_kernarg_size 48
		.amdhsa_user_sgpr_count 15
		.amdhsa_user_sgpr_dispatch_ptr 0
		.amdhsa_user_sgpr_queue_ptr 0
		.amdhsa_user_sgpr_kernarg_segment_ptr 1
		.amdhsa_user_sgpr_dispatch_id 0
		.amdhsa_user_sgpr_private_segment_size 0
		.amdhsa_wavefront_size32 1
		.amdhsa_uses_dynamic_stack 0
		.amdhsa_enable_private_segment 0
		.amdhsa_system_sgpr_workgroup_id_x 1
		.amdhsa_system_sgpr_workgroup_id_y 0
		.amdhsa_system_sgpr_workgroup_id_z 0
		.amdhsa_system_sgpr_workgroup_info 0
		.amdhsa_system_vgpr_workitem_id 0
		.amdhsa_next_free_vgpr 1
		.amdhsa_next_free_sgpr 1
		.amdhsa_reserve_vcc 0
		.amdhsa_float_round_mode_32 0
		.amdhsa_float_round_mode_16_64 0
		.amdhsa_float_denorm_mode_32 3
		.amdhsa_float_denorm_mode_16_64 3
		.amdhsa_dx10_clamp 1
		.amdhsa_ieee_mode 1
		.amdhsa_fp16_overflow 0
		.amdhsa_workgroup_processor_mode 1
		.amdhsa_memory_ordered 1
		.amdhsa_forward_progress 0
		.amdhsa_shared_vgpr_count 0
		.amdhsa_exception_fp_ieee_invalid_op 0
		.amdhsa_exception_fp_denorm_src 0
		.amdhsa_exception_fp_ieee_div_zero 0
		.amdhsa_exception_fp_ieee_overflow 0
		.amdhsa_exception_fp_ieee_underflow 0
		.amdhsa_exception_fp_ieee_inexact 0
		.amdhsa_exception_int_div_zero 0
	.end_amdhsa_kernel
	.section	.text._ZN7rocprim17ROCPRIM_400000_NS6detail17trampoline_kernelINS0_14default_configENS1_21merge_config_selectorIiNS0_10empty_typeEEEZNS1_10merge_implIS3_N6thrust23THRUST_200600_302600_NS6detail15normal_iteratorINS9_10device_ptrIKiEEEESF_NSB_INSC_IiEEEEPS5_SI_SI_NS9_4lessIiEEEE10hipError_tPvRmT0_T1_T2_T3_T4_T5_mmT6_P12ihipStream_tbEUlT_E_NS1_11comp_targetILNS1_3genE10ELNS1_11target_archE1201ELNS1_3gpuE5ELNS1_3repE0EEENS1_30default_config_static_selectorELNS0_4arch9wavefront6targetE0EEEvSP_,"axG",@progbits,_ZN7rocprim17ROCPRIM_400000_NS6detail17trampoline_kernelINS0_14default_configENS1_21merge_config_selectorIiNS0_10empty_typeEEEZNS1_10merge_implIS3_N6thrust23THRUST_200600_302600_NS6detail15normal_iteratorINS9_10device_ptrIKiEEEESF_NSB_INSC_IiEEEEPS5_SI_SI_NS9_4lessIiEEEE10hipError_tPvRmT0_T1_T2_T3_T4_T5_mmT6_P12ihipStream_tbEUlT_E_NS1_11comp_targetILNS1_3genE10ELNS1_11target_archE1201ELNS1_3gpuE5ELNS1_3repE0EEENS1_30default_config_static_selectorELNS0_4arch9wavefront6targetE0EEEvSP_,comdat
.Lfunc_end6:
	.size	_ZN7rocprim17ROCPRIM_400000_NS6detail17trampoline_kernelINS0_14default_configENS1_21merge_config_selectorIiNS0_10empty_typeEEEZNS1_10merge_implIS3_N6thrust23THRUST_200600_302600_NS6detail15normal_iteratorINS9_10device_ptrIKiEEEESF_NSB_INSC_IiEEEEPS5_SI_SI_NS9_4lessIiEEEE10hipError_tPvRmT0_T1_T2_T3_T4_T5_mmT6_P12ihipStream_tbEUlT_E_NS1_11comp_targetILNS1_3genE10ELNS1_11target_archE1201ELNS1_3gpuE5ELNS1_3repE0EEENS1_30default_config_static_selectorELNS0_4arch9wavefront6targetE0EEEvSP_, .Lfunc_end6-_ZN7rocprim17ROCPRIM_400000_NS6detail17trampoline_kernelINS0_14default_configENS1_21merge_config_selectorIiNS0_10empty_typeEEEZNS1_10merge_implIS3_N6thrust23THRUST_200600_302600_NS6detail15normal_iteratorINS9_10device_ptrIKiEEEESF_NSB_INSC_IiEEEEPS5_SI_SI_NS9_4lessIiEEEE10hipError_tPvRmT0_T1_T2_T3_T4_T5_mmT6_P12ihipStream_tbEUlT_E_NS1_11comp_targetILNS1_3genE10ELNS1_11target_archE1201ELNS1_3gpuE5ELNS1_3repE0EEENS1_30default_config_static_selectorELNS0_4arch9wavefront6targetE0EEEvSP_
                                        ; -- End function
	.section	.AMDGPU.csdata,"",@progbits
; Kernel info:
; codeLenInByte = 0
; NumSgprs: 0
; NumVgprs: 0
; ScratchSize: 0
; MemoryBound: 0
; FloatMode: 240
; IeeeMode: 1
; LDSByteSize: 0 bytes/workgroup (compile time only)
; SGPRBlocks: 0
; VGPRBlocks: 0
; NumSGPRsForWavesPerEU: 1
; NumVGPRsForWavesPerEU: 1
; Occupancy: 16
; WaveLimiterHint : 0
; COMPUTE_PGM_RSRC2:SCRATCH_EN: 0
; COMPUTE_PGM_RSRC2:USER_SGPR: 15
; COMPUTE_PGM_RSRC2:TRAP_HANDLER: 0
; COMPUTE_PGM_RSRC2:TGID_X_EN: 1
; COMPUTE_PGM_RSRC2:TGID_Y_EN: 0
; COMPUTE_PGM_RSRC2:TGID_Z_EN: 0
; COMPUTE_PGM_RSRC2:TIDIG_COMP_CNT: 0
	.section	.text._ZN7rocprim17ROCPRIM_400000_NS6detail17trampoline_kernelINS0_14default_configENS1_21merge_config_selectorIiNS0_10empty_typeEEEZNS1_10merge_implIS3_N6thrust23THRUST_200600_302600_NS6detail15normal_iteratorINS9_10device_ptrIKiEEEESF_NSB_INSC_IiEEEEPS5_SI_SI_NS9_4lessIiEEEE10hipError_tPvRmT0_T1_T2_T3_T4_T5_mmT6_P12ihipStream_tbEUlT_E_NS1_11comp_targetILNS1_3genE10ELNS1_11target_archE1200ELNS1_3gpuE4ELNS1_3repE0EEENS1_30default_config_static_selectorELNS0_4arch9wavefront6targetE0EEEvSP_,"axG",@progbits,_ZN7rocprim17ROCPRIM_400000_NS6detail17trampoline_kernelINS0_14default_configENS1_21merge_config_selectorIiNS0_10empty_typeEEEZNS1_10merge_implIS3_N6thrust23THRUST_200600_302600_NS6detail15normal_iteratorINS9_10device_ptrIKiEEEESF_NSB_INSC_IiEEEEPS5_SI_SI_NS9_4lessIiEEEE10hipError_tPvRmT0_T1_T2_T3_T4_T5_mmT6_P12ihipStream_tbEUlT_E_NS1_11comp_targetILNS1_3genE10ELNS1_11target_archE1200ELNS1_3gpuE4ELNS1_3repE0EEENS1_30default_config_static_selectorELNS0_4arch9wavefront6targetE0EEEvSP_,comdat
	.protected	_ZN7rocprim17ROCPRIM_400000_NS6detail17trampoline_kernelINS0_14default_configENS1_21merge_config_selectorIiNS0_10empty_typeEEEZNS1_10merge_implIS3_N6thrust23THRUST_200600_302600_NS6detail15normal_iteratorINS9_10device_ptrIKiEEEESF_NSB_INSC_IiEEEEPS5_SI_SI_NS9_4lessIiEEEE10hipError_tPvRmT0_T1_T2_T3_T4_T5_mmT6_P12ihipStream_tbEUlT_E_NS1_11comp_targetILNS1_3genE10ELNS1_11target_archE1200ELNS1_3gpuE4ELNS1_3repE0EEENS1_30default_config_static_selectorELNS0_4arch9wavefront6targetE0EEEvSP_ ; -- Begin function _ZN7rocprim17ROCPRIM_400000_NS6detail17trampoline_kernelINS0_14default_configENS1_21merge_config_selectorIiNS0_10empty_typeEEEZNS1_10merge_implIS3_N6thrust23THRUST_200600_302600_NS6detail15normal_iteratorINS9_10device_ptrIKiEEEESF_NSB_INSC_IiEEEEPS5_SI_SI_NS9_4lessIiEEEE10hipError_tPvRmT0_T1_T2_T3_T4_T5_mmT6_P12ihipStream_tbEUlT_E_NS1_11comp_targetILNS1_3genE10ELNS1_11target_archE1200ELNS1_3gpuE4ELNS1_3repE0EEENS1_30default_config_static_selectorELNS0_4arch9wavefront6targetE0EEEvSP_
	.globl	_ZN7rocprim17ROCPRIM_400000_NS6detail17trampoline_kernelINS0_14default_configENS1_21merge_config_selectorIiNS0_10empty_typeEEEZNS1_10merge_implIS3_N6thrust23THRUST_200600_302600_NS6detail15normal_iteratorINS9_10device_ptrIKiEEEESF_NSB_INSC_IiEEEEPS5_SI_SI_NS9_4lessIiEEEE10hipError_tPvRmT0_T1_T2_T3_T4_T5_mmT6_P12ihipStream_tbEUlT_E_NS1_11comp_targetILNS1_3genE10ELNS1_11target_archE1200ELNS1_3gpuE4ELNS1_3repE0EEENS1_30default_config_static_selectorELNS0_4arch9wavefront6targetE0EEEvSP_
	.p2align	8
	.type	_ZN7rocprim17ROCPRIM_400000_NS6detail17trampoline_kernelINS0_14default_configENS1_21merge_config_selectorIiNS0_10empty_typeEEEZNS1_10merge_implIS3_N6thrust23THRUST_200600_302600_NS6detail15normal_iteratorINS9_10device_ptrIKiEEEESF_NSB_INSC_IiEEEEPS5_SI_SI_NS9_4lessIiEEEE10hipError_tPvRmT0_T1_T2_T3_T4_T5_mmT6_P12ihipStream_tbEUlT_E_NS1_11comp_targetILNS1_3genE10ELNS1_11target_archE1200ELNS1_3gpuE4ELNS1_3repE0EEENS1_30default_config_static_selectorELNS0_4arch9wavefront6targetE0EEEvSP_,@function
_ZN7rocprim17ROCPRIM_400000_NS6detail17trampoline_kernelINS0_14default_configENS1_21merge_config_selectorIiNS0_10empty_typeEEEZNS1_10merge_implIS3_N6thrust23THRUST_200600_302600_NS6detail15normal_iteratorINS9_10device_ptrIKiEEEESF_NSB_INSC_IiEEEEPS5_SI_SI_NS9_4lessIiEEEE10hipError_tPvRmT0_T1_T2_T3_T4_T5_mmT6_P12ihipStream_tbEUlT_E_NS1_11comp_targetILNS1_3genE10ELNS1_11target_archE1200ELNS1_3gpuE4ELNS1_3repE0EEENS1_30default_config_static_selectorELNS0_4arch9wavefront6targetE0EEEvSP_: ; @_ZN7rocprim17ROCPRIM_400000_NS6detail17trampoline_kernelINS0_14default_configENS1_21merge_config_selectorIiNS0_10empty_typeEEEZNS1_10merge_implIS3_N6thrust23THRUST_200600_302600_NS6detail15normal_iteratorINS9_10device_ptrIKiEEEESF_NSB_INSC_IiEEEEPS5_SI_SI_NS9_4lessIiEEEE10hipError_tPvRmT0_T1_T2_T3_T4_T5_mmT6_P12ihipStream_tbEUlT_E_NS1_11comp_targetILNS1_3genE10ELNS1_11target_archE1200ELNS1_3gpuE4ELNS1_3repE0EEENS1_30default_config_static_selectorELNS0_4arch9wavefront6targetE0EEEvSP_
; %bb.0:
	.section	.rodata,"a",@progbits
	.p2align	6, 0x0
	.amdhsa_kernel _ZN7rocprim17ROCPRIM_400000_NS6detail17trampoline_kernelINS0_14default_configENS1_21merge_config_selectorIiNS0_10empty_typeEEEZNS1_10merge_implIS3_N6thrust23THRUST_200600_302600_NS6detail15normal_iteratorINS9_10device_ptrIKiEEEESF_NSB_INSC_IiEEEEPS5_SI_SI_NS9_4lessIiEEEE10hipError_tPvRmT0_T1_T2_T3_T4_T5_mmT6_P12ihipStream_tbEUlT_E_NS1_11comp_targetILNS1_3genE10ELNS1_11target_archE1200ELNS1_3gpuE4ELNS1_3repE0EEENS1_30default_config_static_selectorELNS0_4arch9wavefront6targetE0EEEvSP_
		.amdhsa_group_segment_fixed_size 0
		.amdhsa_private_segment_fixed_size 0
		.amdhsa_kernarg_size 48
		.amdhsa_user_sgpr_count 15
		.amdhsa_user_sgpr_dispatch_ptr 0
		.amdhsa_user_sgpr_queue_ptr 0
		.amdhsa_user_sgpr_kernarg_segment_ptr 1
		.amdhsa_user_sgpr_dispatch_id 0
		.amdhsa_user_sgpr_private_segment_size 0
		.amdhsa_wavefront_size32 1
		.amdhsa_uses_dynamic_stack 0
		.amdhsa_enable_private_segment 0
		.amdhsa_system_sgpr_workgroup_id_x 1
		.amdhsa_system_sgpr_workgroup_id_y 0
		.amdhsa_system_sgpr_workgroup_id_z 0
		.amdhsa_system_sgpr_workgroup_info 0
		.amdhsa_system_vgpr_workitem_id 0
		.amdhsa_next_free_vgpr 1
		.amdhsa_next_free_sgpr 1
		.amdhsa_reserve_vcc 0
		.amdhsa_float_round_mode_32 0
		.amdhsa_float_round_mode_16_64 0
		.amdhsa_float_denorm_mode_32 3
		.amdhsa_float_denorm_mode_16_64 3
		.amdhsa_dx10_clamp 1
		.amdhsa_ieee_mode 1
		.amdhsa_fp16_overflow 0
		.amdhsa_workgroup_processor_mode 1
		.amdhsa_memory_ordered 1
		.amdhsa_forward_progress 0
		.amdhsa_shared_vgpr_count 0
		.amdhsa_exception_fp_ieee_invalid_op 0
		.amdhsa_exception_fp_denorm_src 0
		.amdhsa_exception_fp_ieee_div_zero 0
		.amdhsa_exception_fp_ieee_overflow 0
		.amdhsa_exception_fp_ieee_underflow 0
		.amdhsa_exception_fp_ieee_inexact 0
		.amdhsa_exception_int_div_zero 0
	.end_amdhsa_kernel
	.section	.text._ZN7rocprim17ROCPRIM_400000_NS6detail17trampoline_kernelINS0_14default_configENS1_21merge_config_selectorIiNS0_10empty_typeEEEZNS1_10merge_implIS3_N6thrust23THRUST_200600_302600_NS6detail15normal_iteratorINS9_10device_ptrIKiEEEESF_NSB_INSC_IiEEEEPS5_SI_SI_NS9_4lessIiEEEE10hipError_tPvRmT0_T1_T2_T3_T4_T5_mmT6_P12ihipStream_tbEUlT_E_NS1_11comp_targetILNS1_3genE10ELNS1_11target_archE1200ELNS1_3gpuE4ELNS1_3repE0EEENS1_30default_config_static_selectorELNS0_4arch9wavefront6targetE0EEEvSP_,"axG",@progbits,_ZN7rocprim17ROCPRIM_400000_NS6detail17trampoline_kernelINS0_14default_configENS1_21merge_config_selectorIiNS0_10empty_typeEEEZNS1_10merge_implIS3_N6thrust23THRUST_200600_302600_NS6detail15normal_iteratorINS9_10device_ptrIKiEEEESF_NSB_INSC_IiEEEEPS5_SI_SI_NS9_4lessIiEEEE10hipError_tPvRmT0_T1_T2_T3_T4_T5_mmT6_P12ihipStream_tbEUlT_E_NS1_11comp_targetILNS1_3genE10ELNS1_11target_archE1200ELNS1_3gpuE4ELNS1_3repE0EEENS1_30default_config_static_selectorELNS0_4arch9wavefront6targetE0EEEvSP_,comdat
.Lfunc_end7:
	.size	_ZN7rocprim17ROCPRIM_400000_NS6detail17trampoline_kernelINS0_14default_configENS1_21merge_config_selectorIiNS0_10empty_typeEEEZNS1_10merge_implIS3_N6thrust23THRUST_200600_302600_NS6detail15normal_iteratorINS9_10device_ptrIKiEEEESF_NSB_INSC_IiEEEEPS5_SI_SI_NS9_4lessIiEEEE10hipError_tPvRmT0_T1_T2_T3_T4_T5_mmT6_P12ihipStream_tbEUlT_E_NS1_11comp_targetILNS1_3genE10ELNS1_11target_archE1200ELNS1_3gpuE4ELNS1_3repE0EEENS1_30default_config_static_selectorELNS0_4arch9wavefront6targetE0EEEvSP_, .Lfunc_end7-_ZN7rocprim17ROCPRIM_400000_NS6detail17trampoline_kernelINS0_14default_configENS1_21merge_config_selectorIiNS0_10empty_typeEEEZNS1_10merge_implIS3_N6thrust23THRUST_200600_302600_NS6detail15normal_iteratorINS9_10device_ptrIKiEEEESF_NSB_INSC_IiEEEEPS5_SI_SI_NS9_4lessIiEEEE10hipError_tPvRmT0_T1_T2_T3_T4_T5_mmT6_P12ihipStream_tbEUlT_E_NS1_11comp_targetILNS1_3genE10ELNS1_11target_archE1200ELNS1_3gpuE4ELNS1_3repE0EEENS1_30default_config_static_selectorELNS0_4arch9wavefront6targetE0EEEvSP_
                                        ; -- End function
	.section	.AMDGPU.csdata,"",@progbits
; Kernel info:
; codeLenInByte = 0
; NumSgprs: 0
; NumVgprs: 0
; ScratchSize: 0
; MemoryBound: 0
; FloatMode: 240
; IeeeMode: 1
; LDSByteSize: 0 bytes/workgroup (compile time only)
; SGPRBlocks: 0
; VGPRBlocks: 0
; NumSGPRsForWavesPerEU: 1
; NumVGPRsForWavesPerEU: 1
; Occupancy: 16
; WaveLimiterHint : 0
; COMPUTE_PGM_RSRC2:SCRATCH_EN: 0
; COMPUTE_PGM_RSRC2:USER_SGPR: 15
; COMPUTE_PGM_RSRC2:TRAP_HANDLER: 0
; COMPUTE_PGM_RSRC2:TGID_X_EN: 1
; COMPUTE_PGM_RSRC2:TGID_Y_EN: 0
; COMPUTE_PGM_RSRC2:TGID_Z_EN: 0
; COMPUTE_PGM_RSRC2:TIDIG_COMP_CNT: 0
	.section	.text._ZN7rocprim17ROCPRIM_400000_NS6detail17trampoline_kernelINS0_14default_configENS1_21merge_config_selectorIiNS0_10empty_typeEEEZNS1_10merge_implIS3_N6thrust23THRUST_200600_302600_NS6detail15normal_iteratorINS9_10device_ptrIKiEEEESF_NSB_INSC_IiEEEEPS5_SI_SI_NS9_4lessIiEEEE10hipError_tPvRmT0_T1_T2_T3_T4_T5_mmT6_P12ihipStream_tbEUlT_E_NS1_11comp_targetILNS1_3genE9ELNS1_11target_archE1100ELNS1_3gpuE3ELNS1_3repE0EEENS1_30default_config_static_selectorELNS0_4arch9wavefront6targetE0EEEvSP_,"axG",@progbits,_ZN7rocprim17ROCPRIM_400000_NS6detail17trampoline_kernelINS0_14default_configENS1_21merge_config_selectorIiNS0_10empty_typeEEEZNS1_10merge_implIS3_N6thrust23THRUST_200600_302600_NS6detail15normal_iteratorINS9_10device_ptrIKiEEEESF_NSB_INSC_IiEEEEPS5_SI_SI_NS9_4lessIiEEEE10hipError_tPvRmT0_T1_T2_T3_T4_T5_mmT6_P12ihipStream_tbEUlT_E_NS1_11comp_targetILNS1_3genE9ELNS1_11target_archE1100ELNS1_3gpuE3ELNS1_3repE0EEENS1_30default_config_static_selectorELNS0_4arch9wavefront6targetE0EEEvSP_,comdat
	.protected	_ZN7rocprim17ROCPRIM_400000_NS6detail17trampoline_kernelINS0_14default_configENS1_21merge_config_selectorIiNS0_10empty_typeEEEZNS1_10merge_implIS3_N6thrust23THRUST_200600_302600_NS6detail15normal_iteratorINS9_10device_ptrIKiEEEESF_NSB_INSC_IiEEEEPS5_SI_SI_NS9_4lessIiEEEE10hipError_tPvRmT0_T1_T2_T3_T4_T5_mmT6_P12ihipStream_tbEUlT_E_NS1_11comp_targetILNS1_3genE9ELNS1_11target_archE1100ELNS1_3gpuE3ELNS1_3repE0EEENS1_30default_config_static_selectorELNS0_4arch9wavefront6targetE0EEEvSP_ ; -- Begin function _ZN7rocprim17ROCPRIM_400000_NS6detail17trampoline_kernelINS0_14default_configENS1_21merge_config_selectorIiNS0_10empty_typeEEEZNS1_10merge_implIS3_N6thrust23THRUST_200600_302600_NS6detail15normal_iteratorINS9_10device_ptrIKiEEEESF_NSB_INSC_IiEEEEPS5_SI_SI_NS9_4lessIiEEEE10hipError_tPvRmT0_T1_T2_T3_T4_T5_mmT6_P12ihipStream_tbEUlT_E_NS1_11comp_targetILNS1_3genE9ELNS1_11target_archE1100ELNS1_3gpuE3ELNS1_3repE0EEENS1_30default_config_static_selectorELNS0_4arch9wavefront6targetE0EEEvSP_
	.globl	_ZN7rocprim17ROCPRIM_400000_NS6detail17trampoline_kernelINS0_14default_configENS1_21merge_config_selectorIiNS0_10empty_typeEEEZNS1_10merge_implIS3_N6thrust23THRUST_200600_302600_NS6detail15normal_iteratorINS9_10device_ptrIKiEEEESF_NSB_INSC_IiEEEEPS5_SI_SI_NS9_4lessIiEEEE10hipError_tPvRmT0_T1_T2_T3_T4_T5_mmT6_P12ihipStream_tbEUlT_E_NS1_11comp_targetILNS1_3genE9ELNS1_11target_archE1100ELNS1_3gpuE3ELNS1_3repE0EEENS1_30default_config_static_selectorELNS0_4arch9wavefront6targetE0EEEvSP_
	.p2align	8
	.type	_ZN7rocprim17ROCPRIM_400000_NS6detail17trampoline_kernelINS0_14default_configENS1_21merge_config_selectorIiNS0_10empty_typeEEEZNS1_10merge_implIS3_N6thrust23THRUST_200600_302600_NS6detail15normal_iteratorINS9_10device_ptrIKiEEEESF_NSB_INSC_IiEEEEPS5_SI_SI_NS9_4lessIiEEEE10hipError_tPvRmT0_T1_T2_T3_T4_T5_mmT6_P12ihipStream_tbEUlT_E_NS1_11comp_targetILNS1_3genE9ELNS1_11target_archE1100ELNS1_3gpuE3ELNS1_3repE0EEENS1_30default_config_static_selectorELNS0_4arch9wavefront6targetE0EEEvSP_,@function
_ZN7rocprim17ROCPRIM_400000_NS6detail17trampoline_kernelINS0_14default_configENS1_21merge_config_selectorIiNS0_10empty_typeEEEZNS1_10merge_implIS3_N6thrust23THRUST_200600_302600_NS6detail15normal_iteratorINS9_10device_ptrIKiEEEESF_NSB_INSC_IiEEEEPS5_SI_SI_NS9_4lessIiEEEE10hipError_tPvRmT0_T1_T2_T3_T4_T5_mmT6_P12ihipStream_tbEUlT_E_NS1_11comp_targetILNS1_3genE9ELNS1_11target_archE1100ELNS1_3gpuE3ELNS1_3repE0EEENS1_30default_config_static_selectorELNS0_4arch9wavefront6targetE0EEEvSP_: ; @_ZN7rocprim17ROCPRIM_400000_NS6detail17trampoline_kernelINS0_14default_configENS1_21merge_config_selectorIiNS0_10empty_typeEEEZNS1_10merge_implIS3_N6thrust23THRUST_200600_302600_NS6detail15normal_iteratorINS9_10device_ptrIKiEEEESF_NSB_INSC_IiEEEEPS5_SI_SI_NS9_4lessIiEEEE10hipError_tPvRmT0_T1_T2_T3_T4_T5_mmT6_P12ihipStream_tbEUlT_E_NS1_11comp_targetILNS1_3genE9ELNS1_11target_archE1100ELNS1_3gpuE3ELNS1_3repE0EEENS1_30default_config_static_selectorELNS0_4arch9wavefront6targetE0EEEvSP_
; %bb.0:
	s_clause 0x2
	s_load_b32 s4, s[0:1], 0x28
	s_load_b32 s2, s[0:1], 0x3c
	s_load_b128 s[8:11], s[0:1], 0x18
	s_waitcnt lgkmcnt(0)
	v_cvt_f32_u32_e32 v1, s4
	s_and_b32 s5, s2, 0xffff
	s_add_u32 s2, s10, s8
	s_addc_u32 s3, s11, s9
	s_sub_i32 s7, 0, s4
	v_rcp_iflag_f32_e32 v1, v1
	s_add_i32 s12, s4, s2
	s_delay_alu instid0(SALU_CYCLE_1) | instskip(SKIP_2) | instid1(VALU_DEP_1)
	s_add_i32 s12, s12, -1
	s_waitcnt_depctr 0xfff
	v_mul_f32_e32 v1, 0x4f7ffffe, v1
	v_cvt_u32_f32_e32 v1, v1
	s_delay_alu instid0(VALU_DEP_1) | instskip(SKIP_1) | instid1(VALU_DEP_2)
	v_readfirstlane_b32 s6, v1
	v_mad_u64_u32 v[1:2], null, s15, s5, v[0:1]
	s_mul_i32 s7, s7, s6
	s_delay_alu instid0(SALU_CYCLE_1) | instskip(NEXT) | instid1(SALU_CYCLE_1)
	s_mul_hi_u32 s7, s6, s7
	s_add_i32 s6, s6, s7
	s_delay_alu instid0(SALU_CYCLE_1) | instskip(NEXT) | instid1(SALU_CYCLE_1)
	s_mul_hi_u32 s6, s12, s6
	s_mul_i32 s7, s6, s4
	s_delay_alu instid0(SALU_CYCLE_1)
	s_sub_i32 s7, s12, s7
	s_add_i32 s12, s6, 1
	s_sub_i32 s13, s7, s4
	s_cmp_ge_u32 s7, s4
	s_cselect_b32 s5, s12, s6
	s_cselect_b32 s6, s13, s7
	s_add_i32 s7, s5, 1
	s_cmp_ge_u32 s6, s4
	s_cselect_b32 s5, s7, s5
	s_delay_alu instid0(SALU_CYCLE_1)
	v_cmp_ge_u32_e32 vcc_lo, s5, v1
	s_and_saveexec_b32 s5, vcc_lo
	s_cbranch_execz .LBB8_6
; %bb.1:
	v_mul_lo_u32 v2, v1, s4
	v_mov_b32_e32 v3, 0
	s_load_b128 s[4:7], s[0:1], 0x0
	s_delay_alu instid0(VALU_DEP_1) | instskip(SKIP_2) | instid1(VALU_DEP_2)
	v_cmp_gt_u64_e32 vcc_lo, s[2:3], v[2:3]
	v_cndmask_b32_e32 v7, s2, v2, vcc_lo
	v_cndmask_b32_e64 v8, s3, 0, vcc_lo
	v_sub_co_u32 v2, vcc_lo, v7, s10
	s_delay_alu instid0(VALU_DEP_2) | instskip(SKIP_1) | instid1(VALU_DEP_2)
	v_subrev_co_ci_u32_e32 v3, vcc_lo, s11, v8, vcc_lo
	v_cmp_gt_u64_e64 s2, s[8:9], v[7:8]
	v_cmp_gt_u64_e32 vcc_lo, v[2:3], v[7:8]
	s_delay_alu instid0(VALU_DEP_2) | instskip(SKIP_4) | instid1(VALU_DEP_1)
	v_cndmask_b32_e64 v6, s9, v8, s2
	v_cndmask_b32_e64 v5, s8, v7, s2
	s_mov_b32 s2, exec_lo
	v_cndmask_b32_e64 v4, v3, 0, vcc_lo
	v_cndmask_b32_e64 v3, v2, 0, vcc_lo
	v_cmpx_lt_u64_e64 v[3:4], v[5:6]
	s_cbranch_execz .LBB8_5
; %bb.2:
	s_load_b64 s[0:1], s[0:1], 0x10
	v_lshlrev_b64 v[7:8], 2, v[7:8]
	s_waitcnt lgkmcnt(0)
	s_delay_alu instid0(VALU_DEP_1) | instskip(NEXT) | instid1(VALU_DEP_2)
	v_add_co_u32 v0, vcc_lo, s0, v7
	v_add_co_ci_u32_e32 v2, vcc_lo, s1, v8, vcc_lo
	s_mov_b32 s0, 0
	s_set_inst_prefetch_distance 0x1
	.p2align	6
.LBB8_3:                                ; =>This Inner Loop Header: Depth=1
	v_add_co_u32 v7, vcc_lo, v5, v3
	v_add_co_ci_u32_e32 v8, vcc_lo, v6, v4, vcc_lo
	s_delay_alu instid0(VALU_DEP_1) | instskip(NEXT) | instid1(VALU_DEP_1)
	v_lshrrev_b64 v[7:8], 1, v[7:8]
	v_not_b32_e32 v10, v8
	s_delay_alu instid0(VALU_DEP_2) | instskip(SKIP_1) | instid1(VALU_DEP_2)
	v_not_b32_e32 v9, v7
	v_lshlrev_b64 v[11:12], 2, v[7:8]
	v_lshlrev_b64 v[9:10], 2, v[9:10]
	s_delay_alu instid0(VALU_DEP_2) | instskip(NEXT) | instid1(VALU_DEP_3)
	v_add_co_u32 v11, vcc_lo, s6, v11
	v_add_co_ci_u32_e32 v12, vcc_lo, s7, v12, vcc_lo
	s_delay_alu instid0(VALU_DEP_3) | instskip(NEXT) | instid1(VALU_DEP_4)
	v_add_co_u32 v9, vcc_lo, v0, v9
	v_add_co_ci_u32_e32 v10, vcc_lo, v2, v10, vcc_lo
	global_load_b32 v11, v[11:12], off
	global_load_b32 v9, v[9:10], off
	v_add_co_u32 v10, vcc_lo, v7, 1
	v_add_co_ci_u32_e32 v12, vcc_lo, 0, v8, vcc_lo
	s_waitcnt vmcnt(0)
	v_cmp_lt_i32_e32 vcc_lo, v9, v11
	v_dual_cndmask_b32 v6, v6, v8 :: v_dual_cndmask_b32 v5, v5, v7
	s_delay_alu instid0(VALU_DEP_3) | instskip(NEXT) | instid1(VALU_DEP_1)
	v_dual_cndmask_b32 v4, v12, v4 :: v_dual_cndmask_b32 v3, v10, v3
	v_cmp_ge_u64_e32 vcc_lo, v[3:4], v[5:6]
	s_or_b32 s0, vcc_lo, s0
	s_delay_alu instid0(SALU_CYCLE_1)
	s_and_not1_b32 exec_lo, exec_lo, s0
	s_cbranch_execnz .LBB8_3
; %bb.4:
	s_set_inst_prefetch_distance 0x2
	s_or_b32 exec_lo, exec_lo, s0
.LBB8_5:
	s_delay_alu instid0(SALU_CYCLE_1) | instskip(SKIP_1) | instid1(VALU_DEP_1)
	s_or_b32 exec_lo, exec_lo, s2
	v_mov_b32_e32 v2, 0
	v_lshlrev_b64 v[0:1], 2, v[1:2]
	s_waitcnt lgkmcnt(0)
	s_delay_alu instid0(VALU_DEP_1) | instskip(NEXT) | instid1(VALU_DEP_2)
	v_add_co_u32 v0, vcc_lo, s4, v0
	v_add_co_ci_u32_e32 v1, vcc_lo, s5, v1, vcc_lo
	global_store_b32 v[0:1], v3, off
.LBB8_6:
	s_nop 0
	s_sendmsg sendmsg(MSG_DEALLOC_VGPRS)
	s_endpgm
	.section	.rodata,"a",@progbits
	.p2align	6, 0x0
	.amdhsa_kernel _ZN7rocprim17ROCPRIM_400000_NS6detail17trampoline_kernelINS0_14default_configENS1_21merge_config_selectorIiNS0_10empty_typeEEEZNS1_10merge_implIS3_N6thrust23THRUST_200600_302600_NS6detail15normal_iteratorINS9_10device_ptrIKiEEEESF_NSB_INSC_IiEEEEPS5_SI_SI_NS9_4lessIiEEEE10hipError_tPvRmT0_T1_T2_T3_T4_T5_mmT6_P12ihipStream_tbEUlT_E_NS1_11comp_targetILNS1_3genE9ELNS1_11target_archE1100ELNS1_3gpuE3ELNS1_3repE0EEENS1_30default_config_static_selectorELNS0_4arch9wavefront6targetE0EEEvSP_
		.amdhsa_group_segment_fixed_size 0
		.amdhsa_private_segment_fixed_size 0
		.amdhsa_kernarg_size 304
		.amdhsa_user_sgpr_count 15
		.amdhsa_user_sgpr_dispatch_ptr 0
		.amdhsa_user_sgpr_queue_ptr 0
		.amdhsa_user_sgpr_kernarg_segment_ptr 1
		.amdhsa_user_sgpr_dispatch_id 0
		.amdhsa_user_sgpr_private_segment_size 0
		.amdhsa_wavefront_size32 1
		.amdhsa_uses_dynamic_stack 0
		.amdhsa_enable_private_segment 0
		.amdhsa_system_sgpr_workgroup_id_x 1
		.amdhsa_system_sgpr_workgroup_id_y 0
		.amdhsa_system_sgpr_workgroup_id_z 0
		.amdhsa_system_sgpr_workgroup_info 0
		.amdhsa_system_vgpr_workitem_id 0
		.amdhsa_next_free_vgpr 13
		.amdhsa_next_free_sgpr 16
		.amdhsa_reserve_vcc 1
		.amdhsa_float_round_mode_32 0
		.amdhsa_float_round_mode_16_64 0
		.amdhsa_float_denorm_mode_32 3
		.amdhsa_float_denorm_mode_16_64 3
		.amdhsa_dx10_clamp 1
		.amdhsa_ieee_mode 1
		.amdhsa_fp16_overflow 0
		.amdhsa_workgroup_processor_mode 1
		.amdhsa_memory_ordered 1
		.amdhsa_forward_progress 0
		.amdhsa_shared_vgpr_count 0
		.amdhsa_exception_fp_ieee_invalid_op 0
		.amdhsa_exception_fp_denorm_src 0
		.amdhsa_exception_fp_ieee_div_zero 0
		.amdhsa_exception_fp_ieee_overflow 0
		.amdhsa_exception_fp_ieee_underflow 0
		.amdhsa_exception_fp_ieee_inexact 0
		.amdhsa_exception_int_div_zero 0
	.end_amdhsa_kernel
	.section	.text._ZN7rocprim17ROCPRIM_400000_NS6detail17trampoline_kernelINS0_14default_configENS1_21merge_config_selectorIiNS0_10empty_typeEEEZNS1_10merge_implIS3_N6thrust23THRUST_200600_302600_NS6detail15normal_iteratorINS9_10device_ptrIKiEEEESF_NSB_INSC_IiEEEEPS5_SI_SI_NS9_4lessIiEEEE10hipError_tPvRmT0_T1_T2_T3_T4_T5_mmT6_P12ihipStream_tbEUlT_E_NS1_11comp_targetILNS1_3genE9ELNS1_11target_archE1100ELNS1_3gpuE3ELNS1_3repE0EEENS1_30default_config_static_selectorELNS0_4arch9wavefront6targetE0EEEvSP_,"axG",@progbits,_ZN7rocprim17ROCPRIM_400000_NS6detail17trampoline_kernelINS0_14default_configENS1_21merge_config_selectorIiNS0_10empty_typeEEEZNS1_10merge_implIS3_N6thrust23THRUST_200600_302600_NS6detail15normal_iteratorINS9_10device_ptrIKiEEEESF_NSB_INSC_IiEEEEPS5_SI_SI_NS9_4lessIiEEEE10hipError_tPvRmT0_T1_T2_T3_T4_T5_mmT6_P12ihipStream_tbEUlT_E_NS1_11comp_targetILNS1_3genE9ELNS1_11target_archE1100ELNS1_3gpuE3ELNS1_3repE0EEENS1_30default_config_static_selectorELNS0_4arch9wavefront6targetE0EEEvSP_,comdat
.Lfunc_end8:
	.size	_ZN7rocprim17ROCPRIM_400000_NS6detail17trampoline_kernelINS0_14default_configENS1_21merge_config_selectorIiNS0_10empty_typeEEEZNS1_10merge_implIS3_N6thrust23THRUST_200600_302600_NS6detail15normal_iteratorINS9_10device_ptrIKiEEEESF_NSB_INSC_IiEEEEPS5_SI_SI_NS9_4lessIiEEEE10hipError_tPvRmT0_T1_T2_T3_T4_T5_mmT6_P12ihipStream_tbEUlT_E_NS1_11comp_targetILNS1_3genE9ELNS1_11target_archE1100ELNS1_3gpuE3ELNS1_3repE0EEENS1_30default_config_static_selectorELNS0_4arch9wavefront6targetE0EEEvSP_, .Lfunc_end8-_ZN7rocprim17ROCPRIM_400000_NS6detail17trampoline_kernelINS0_14default_configENS1_21merge_config_selectorIiNS0_10empty_typeEEEZNS1_10merge_implIS3_N6thrust23THRUST_200600_302600_NS6detail15normal_iteratorINS9_10device_ptrIKiEEEESF_NSB_INSC_IiEEEEPS5_SI_SI_NS9_4lessIiEEEE10hipError_tPvRmT0_T1_T2_T3_T4_T5_mmT6_P12ihipStream_tbEUlT_E_NS1_11comp_targetILNS1_3genE9ELNS1_11target_archE1100ELNS1_3gpuE3ELNS1_3repE0EEENS1_30default_config_static_selectorELNS0_4arch9wavefront6targetE0EEEvSP_
                                        ; -- End function
	.section	.AMDGPU.csdata,"",@progbits
; Kernel info:
; codeLenInByte = 580
; NumSgprs: 18
; NumVgprs: 13
; ScratchSize: 0
; MemoryBound: 0
; FloatMode: 240
; IeeeMode: 1
; LDSByteSize: 0 bytes/workgroup (compile time only)
; SGPRBlocks: 2
; VGPRBlocks: 1
; NumSGPRsForWavesPerEU: 18
; NumVGPRsForWavesPerEU: 13
; Occupancy: 16
; WaveLimiterHint : 0
; COMPUTE_PGM_RSRC2:SCRATCH_EN: 0
; COMPUTE_PGM_RSRC2:USER_SGPR: 15
; COMPUTE_PGM_RSRC2:TRAP_HANDLER: 0
; COMPUTE_PGM_RSRC2:TGID_X_EN: 1
; COMPUTE_PGM_RSRC2:TGID_Y_EN: 0
; COMPUTE_PGM_RSRC2:TGID_Z_EN: 0
; COMPUTE_PGM_RSRC2:TIDIG_COMP_CNT: 0
	.section	.text._ZN7rocprim17ROCPRIM_400000_NS6detail17trampoline_kernelINS0_14default_configENS1_21merge_config_selectorIiNS0_10empty_typeEEEZNS1_10merge_implIS3_N6thrust23THRUST_200600_302600_NS6detail15normal_iteratorINS9_10device_ptrIKiEEEESF_NSB_INSC_IiEEEEPS5_SI_SI_NS9_4lessIiEEEE10hipError_tPvRmT0_T1_T2_T3_T4_T5_mmT6_P12ihipStream_tbEUlT_E_NS1_11comp_targetILNS1_3genE8ELNS1_11target_archE1030ELNS1_3gpuE2ELNS1_3repE0EEENS1_30default_config_static_selectorELNS0_4arch9wavefront6targetE0EEEvSP_,"axG",@progbits,_ZN7rocprim17ROCPRIM_400000_NS6detail17trampoline_kernelINS0_14default_configENS1_21merge_config_selectorIiNS0_10empty_typeEEEZNS1_10merge_implIS3_N6thrust23THRUST_200600_302600_NS6detail15normal_iteratorINS9_10device_ptrIKiEEEESF_NSB_INSC_IiEEEEPS5_SI_SI_NS9_4lessIiEEEE10hipError_tPvRmT0_T1_T2_T3_T4_T5_mmT6_P12ihipStream_tbEUlT_E_NS1_11comp_targetILNS1_3genE8ELNS1_11target_archE1030ELNS1_3gpuE2ELNS1_3repE0EEENS1_30default_config_static_selectorELNS0_4arch9wavefront6targetE0EEEvSP_,comdat
	.protected	_ZN7rocprim17ROCPRIM_400000_NS6detail17trampoline_kernelINS0_14default_configENS1_21merge_config_selectorIiNS0_10empty_typeEEEZNS1_10merge_implIS3_N6thrust23THRUST_200600_302600_NS6detail15normal_iteratorINS9_10device_ptrIKiEEEESF_NSB_INSC_IiEEEEPS5_SI_SI_NS9_4lessIiEEEE10hipError_tPvRmT0_T1_T2_T3_T4_T5_mmT6_P12ihipStream_tbEUlT_E_NS1_11comp_targetILNS1_3genE8ELNS1_11target_archE1030ELNS1_3gpuE2ELNS1_3repE0EEENS1_30default_config_static_selectorELNS0_4arch9wavefront6targetE0EEEvSP_ ; -- Begin function _ZN7rocprim17ROCPRIM_400000_NS6detail17trampoline_kernelINS0_14default_configENS1_21merge_config_selectorIiNS0_10empty_typeEEEZNS1_10merge_implIS3_N6thrust23THRUST_200600_302600_NS6detail15normal_iteratorINS9_10device_ptrIKiEEEESF_NSB_INSC_IiEEEEPS5_SI_SI_NS9_4lessIiEEEE10hipError_tPvRmT0_T1_T2_T3_T4_T5_mmT6_P12ihipStream_tbEUlT_E_NS1_11comp_targetILNS1_3genE8ELNS1_11target_archE1030ELNS1_3gpuE2ELNS1_3repE0EEENS1_30default_config_static_selectorELNS0_4arch9wavefront6targetE0EEEvSP_
	.globl	_ZN7rocprim17ROCPRIM_400000_NS6detail17trampoline_kernelINS0_14default_configENS1_21merge_config_selectorIiNS0_10empty_typeEEEZNS1_10merge_implIS3_N6thrust23THRUST_200600_302600_NS6detail15normal_iteratorINS9_10device_ptrIKiEEEESF_NSB_INSC_IiEEEEPS5_SI_SI_NS9_4lessIiEEEE10hipError_tPvRmT0_T1_T2_T3_T4_T5_mmT6_P12ihipStream_tbEUlT_E_NS1_11comp_targetILNS1_3genE8ELNS1_11target_archE1030ELNS1_3gpuE2ELNS1_3repE0EEENS1_30default_config_static_selectorELNS0_4arch9wavefront6targetE0EEEvSP_
	.p2align	8
	.type	_ZN7rocprim17ROCPRIM_400000_NS6detail17trampoline_kernelINS0_14default_configENS1_21merge_config_selectorIiNS0_10empty_typeEEEZNS1_10merge_implIS3_N6thrust23THRUST_200600_302600_NS6detail15normal_iteratorINS9_10device_ptrIKiEEEESF_NSB_INSC_IiEEEEPS5_SI_SI_NS9_4lessIiEEEE10hipError_tPvRmT0_T1_T2_T3_T4_T5_mmT6_P12ihipStream_tbEUlT_E_NS1_11comp_targetILNS1_3genE8ELNS1_11target_archE1030ELNS1_3gpuE2ELNS1_3repE0EEENS1_30default_config_static_selectorELNS0_4arch9wavefront6targetE0EEEvSP_,@function
_ZN7rocprim17ROCPRIM_400000_NS6detail17trampoline_kernelINS0_14default_configENS1_21merge_config_selectorIiNS0_10empty_typeEEEZNS1_10merge_implIS3_N6thrust23THRUST_200600_302600_NS6detail15normal_iteratorINS9_10device_ptrIKiEEEESF_NSB_INSC_IiEEEEPS5_SI_SI_NS9_4lessIiEEEE10hipError_tPvRmT0_T1_T2_T3_T4_T5_mmT6_P12ihipStream_tbEUlT_E_NS1_11comp_targetILNS1_3genE8ELNS1_11target_archE1030ELNS1_3gpuE2ELNS1_3repE0EEENS1_30default_config_static_selectorELNS0_4arch9wavefront6targetE0EEEvSP_: ; @_ZN7rocprim17ROCPRIM_400000_NS6detail17trampoline_kernelINS0_14default_configENS1_21merge_config_selectorIiNS0_10empty_typeEEEZNS1_10merge_implIS3_N6thrust23THRUST_200600_302600_NS6detail15normal_iteratorINS9_10device_ptrIKiEEEESF_NSB_INSC_IiEEEEPS5_SI_SI_NS9_4lessIiEEEE10hipError_tPvRmT0_T1_T2_T3_T4_T5_mmT6_P12ihipStream_tbEUlT_E_NS1_11comp_targetILNS1_3genE8ELNS1_11target_archE1030ELNS1_3gpuE2ELNS1_3repE0EEENS1_30default_config_static_selectorELNS0_4arch9wavefront6targetE0EEEvSP_
; %bb.0:
	.section	.rodata,"a",@progbits
	.p2align	6, 0x0
	.amdhsa_kernel _ZN7rocprim17ROCPRIM_400000_NS6detail17trampoline_kernelINS0_14default_configENS1_21merge_config_selectorIiNS0_10empty_typeEEEZNS1_10merge_implIS3_N6thrust23THRUST_200600_302600_NS6detail15normal_iteratorINS9_10device_ptrIKiEEEESF_NSB_INSC_IiEEEEPS5_SI_SI_NS9_4lessIiEEEE10hipError_tPvRmT0_T1_T2_T3_T4_T5_mmT6_P12ihipStream_tbEUlT_E_NS1_11comp_targetILNS1_3genE8ELNS1_11target_archE1030ELNS1_3gpuE2ELNS1_3repE0EEENS1_30default_config_static_selectorELNS0_4arch9wavefront6targetE0EEEvSP_
		.amdhsa_group_segment_fixed_size 0
		.amdhsa_private_segment_fixed_size 0
		.amdhsa_kernarg_size 48
		.amdhsa_user_sgpr_count 15
		.amdhsa_user_sgpr_dispatch_ptr 0
		.amdhsa_user_sgpr_queue_ptr 0
		.amdhsa_user_sgpr_kernarg_segment_ptr 1
		.amdhsa_user_sgpr_dispatch_id 0
		.amdhsa_user_sgpr_private_segment_size 0
		.amdhsa_wavefront_size32 1
		.amdhsa_uses_dynamic_stack 0
		.amdhsa_enable_private_segment 0
		.amdhsa_system_sgpr_workgroup_id_x 1
		.amdhsa_system_sgpr_workgroup_id_y 0
		.amdhsa_system_sgpr_workgroup_id_z 0
		.amdhsa_system_sgpr_workgroup_info 0
		.amdhsa_system_vgpr_workitem_id 0
		.amdhsa_next_free_vgpr 1
		.amdhsa_next_free_sgpr 1
		.amdhsa_reserve_vcc 0
		.amdhsa_float_round_mode_32 0
		.amdhsa_float_round_mode_16_64 0
		.amdhsa_float_denorm_mode_32 3
		.amdhsa_float_denorm_mode_16_64 3
		.amdhsa_dx10_clamp 1
		.amdhsa_ieee_mode 1
		.amdhsa_fp16_overflow 0
		.amdhsa_workgroup_processor_mode 1
		.amdhsa_memory_ordered 1
		.amdhsa_forward_progress 0
		.amdhsa_shared_vgpr_count 0
		.amdhsa_exception_fp_ieee_invalid_op 0
		.amdhsa_exception_fp_denorm_src 0
		.amdhsa_exception_fp_ieee_div_zero 0
		.amdhsa_exception_fp_ieee_overflow 0
		.amdhsa_exception_fp_ieee_underflow 0
		.amdhsa_exception_fp_ieee_inexact 0
		.amdhsa_exception_int_div_zero 0
	.end_amdhsa_kernel
	.section	.text._ZN7rocprim17ROCPRIM_400000_NS6detail17trampoline_kernelINS0_14default_configENS1_21merge_config_selectorIiNS0_10empty_typeEEEZNS1_10merge_implIS3_N6thrust23THRUST_200600_302600_NS6detail15normal_iteratorINS9_10device_ptrIKiEEEESF_NSB_INSC_IiEEEEPS5_SI_SI_NS9_4lessIiEEEE10hipError_tPvRmT0_T1_T2_T3_T4_T5_mmT6_P12ihipStream_tbEUlT_E_NS1_11comp_targetILNS1_3genE8ELNS1_11target_archE1030ELNS1_3gpuE2ELNS1_3repE0EEENS1_30default_config_static_selectorELNS0_4arch9wavefront6targetE0EEEvSP_,"axG",@progbits,_ZN7rocprim17ROCPRIM_400000_NS6detail17trampoline_kernelINS0_14default_configENS1_21merge_config_selectorIiNS0_10empty_typeEEEZNS1_10merge_implIS3_N6thrust23THRUST_200600_302600_NS6detail15normal_iteratorINS9_10device_ptrIKiEEEESF_NSB_INSC_IiEEEEPS5_SI_SI_NS9_4lessIiEEEE10hipError_tPvRmT0_T1_T2_T3_T4_T5_mmT6_P12ihipStream_tbEUlT_E_NS1_11comp_targetILNS1_3genE8ELNS1_11target_archE1030ELNS1_3gpuE2ELNS1_3repE0EEENS1_30default_config_static_selectorELNS0_4arch9wavefront6targetE0EEEvSP_,comdat
.Lfunc_end9:
	.size	_ZN7rocprim17ROCPRIM_400000_NS6detail17trampoline_kernelINS0_14default_configENS1_21merge_config_selectorIiNS0_10empty_typeEEEZNS1_10merge_implIS3_N6thrust23THRUST_200600_302600_NS6detail15normal_iteratorINS9_10device_ptrIKiEEEESF_NSB_INSC_IiEEEEPS5_SI_SI_NS9_4lessIiEEEE10hipError_tPvRmT0_T1_T2_T3_T4_T5_mmT6_P12ihipStream_tbEUlT_E_NS1_11comp_targetILNS1_3genE8ELNS1_11target_archE1030ELNS1_3gpuE2ELNS1_3repE0EEENS1_30default_config_static_selectorELNS0_4arch9wavefront6targetE0EEEvSP_, .Lfunc_end9-_ZN7rocprim17ROCPRIM_400000_NS6detail17trampoline_kernelINS0_14default_configENS1_21merge_config_selectorIiNS0_10empty_typeEEEZNS1_10merge_implIS3_N6thrust23THRUST_200600_302600_NS6detail15normal_iteratorINS9_10device_ptrIKiEEEESF_NSB_INSC_IiEEEEPS5_SI_SI_NS9_4lessIiEEEE10hipError_tPvRmT0_T1_T2_T3_T4_T5_mmT6_P12ihipStream_tbEUlT_E_NS1_11comp_targetILNS1_3genE8ELNS1_11target_archE1030ELNS1_3gpuE2ELNS1_3repE0EEENS1_30default_config_static_selectorELNS0_4arch9wavefront6targetE0EEEvSP_
                                        ; -- End function
	.section	.AMDGPU.csdata,"",@progbits
; Kernel info:
; codeLenInByte = 0
; NumSgprs: 0
; NumVgprs: 0
; ScratchSize: 0
; MemoryBound: 0
; FloatMode: 240
; IeeeMode: 1
; LDSByteSize: 0 bytes/workgroup (compile time only)
; SGPRBlocks: 0
; VGPRBlocks: 0
; NumSGPRsForWavesPerEU: 1
; NumVGPRsForWavesPerEU: 1
; Occupancy: 16
; WaveLimiterHint : 0
; COMPUTE_PGM_RSRC2:SCRATCH_EN: 0
; COMPUTE_PGM_RSRC2:USER_SGPR: 15
; COMPUTE_PGM_RSRC2:TRAP_HANDLER: 0
; COMPUTE_PGM_RSRC2:TGID_X_EN: 1
; COMPUTE_PGM_RSRC2:TGID_Y_EN: 0
; COMPUTE_PGM_RSRC2:TGID_Z_EN: 0
; COMPUTE_PGM_RSRC2:TIDIG_COMP_CNT: 0
	.section	.text._ZN7rocprim17ROCPRIM_400000_NS6detail17trampoline_kernelINS0_14default_configENS1_21merge_config_selectorIiNS0_10empty_typeEEEZNS1_10merge_implIS3_N6thrust23THRUST_200600_302600_NS6detail15normal_iteratorINS9_10device_ptrIKiEEEESF_NSB_INSC_IiEEEEPS5_SI_SI_NS9_4lessIiEEEE10hipError_tPvRmT0_T1_T2_T3_T4_T5_mmT6_P12ihipStream_tbEUlT_E0_NS1_11comp_targetILNS1_3genE0ELNS1_11target_archE4294967295ELNS1_3gpuE0ELNS1_3repE0EEENS1_30default_config_static_selectorELNS0_4arch9wavefront6targetE0EEEvSP_,"axG",@progbits,_ZN7rocprim17ROCPRIM_400000_NS6detail17trampoline_kernelINS0_14default_configENS1_21merge_config_selectorIiNS0_10empty_typeEEEZNS1_10merge_implIS3_N6thrust23THRUST_200600_302600_NS6detail15normal_iteratorINS9_10device_ptrIKiEEEESF_NSB_INSC_IiEEEEPS5_SI_SI_NS9_4lessIiEEEE10hipError_tPvRmT0_T1_T2_T3_T4_T5_mmT6_P12ihipStream_tbEUlT_E0_NS1_11comp_targetILNS1_3genE0ELNS1_11target_archE4294967295ELNS1_3gpuE0ELNS1_3repE0EEENS1_30default_config_static_selectorELNS0_4arch9wavefront6targetE0EEEvSP_,comdat
	.protected	_ZN7rocprim17ROCPRIM_400000_NS6detail17trampoline_kernelINS0_14default_configENS1_21merge_config_selectorIiNS0_10empty_typeEEEZNS1_10merge_implIS3_N6thrust23THRUST_200600_302600_NS6detail15normal_iteratorINS9_10device_ptrIKiEEEESF_NSB_INSC_IiEEEEPS5_SI_SI_NS9_4lessIiEEEE10hipError_tPvRmT0_T1_T2_T3_T4_T5_mmT6_P12ihipStream_tbEUlT_E0_NS1_11comp_targetILNS1_3genE0ELNS1_11target_archE4294967295ELNS1_3gpuE0ELNS1_3repE0EEENS1_30default_config_static_selectorELNS0_4arch9wavefront6targetE0EEEvSP_ ; -- Begin function _ZN7rocprim17ROCPRIM_400000_NS6detail17trampoline_kernelINS0_14default_configENS1_21merge_config_selectorIiNS0_10empty_typeEEEZNS1_10merge_implIS3_N6thrust23THRUST_200600_302600_NS6detail15normal_iteratorINS9_10device_ptrIKiEEEESF_NSB_INSC_IiEEEEPS5_SI_SI_NS9_4lessIiEEEE10hipError_tPvRmT0_T1_T2_T3_T4_T5_mmT6_P12ihipStream_tbEUlT_E0_NS1_11comp_targetILNS1_3genE0ELNS1_11target_archE4294967295ELNS1_3gpuE0ELNS1_3repE0EEENS1_30default_config_static_selectorELNS0_4arch9wavefront6targetE0EEEvSP_
	.globl	_ZN7rocprim17ROCPRIM_400000_NS6detail17trampoline_kernelINS0_14default_configENS1_21merge_config_selectorIiNS0_10empty_typeEEEZNS1_10merge_implIS3_N6thrust23THRUST_200600_302600_NS6detail15normal_iteratorINS9_10device_ptrIKiEEEESF_NSB_INSC_IiEEEEPS5_SI_SI_NS9_4lessIiEEEE10hipError_tPvRmT0_T1_T2_T3_T4_T5_mmT6_P12ihipStream_tbEUlT_E0_NS1_11comp_targetILNS1_3genE0ELNS1_11target_archE4294967295ELNS1_3gpuE0ELNS1_3repE0EEENS1_30default_config_static_selectorELNS0_4arch9wavefront6targetE0EEEvSP_
	.p2align	8
	.type	_ZN7rocprim17ROCPRIM_400000_NS6detail17trampoline_kernelINS0_14default_configENS1_21merge_config_selectorIiNS0_10empty_typeEEEZNS1_10merge_implIS3_N6thrust23THRUST_200600_302600_NS6detail15normal_iteratorINS9_10device_ptrIKiEEEESF_NSB_INSC_IiEEEEPS5_SI_SI_NS9_4lessIiEEEE10hipError_tPvRmT0_T1_T2_T3_T4_T5_mmT6_P12ihipStream_tbEUlT_E0_NS1_11comp_targetILNS1_3genE0ELNS1_11target_archE4294967295ELNS1_3gpuE0ELNS1_3repE0EEENS1_30default_config_static_selectorELNS0_4arch9wavefront6targetE0EEEvSP_,@function
_ZN7rocprim17ROCPRIM_400000_NS6detail17trampoline_kernelINS0_14default_configENS1_21merge_config_selectorIiNS0_10empty_typeEEEZNS1_10merge_implIS3_N6thrust23THRUST_200600_302600_NS6detail15normal_iteratorINS9_10device_ptrIKiEEEESF_NSB_INSC_IiEEEEPS5_SI_SI_NS9_4lessIiEEEE10hipError_tPvRmT0_T1_T2_T3_T4_T5_mmT6_P12ihipStream_tbEUlT_E0_NS1_11comp_targetILNS1_3genE0ELNS1_11target_archE4294967295ELNS1_3gpuE0ELNS1_3repE0EEENS1_30default_config_static_selectorELNS0_4arch9wavefront6targetE0EEEvSP_: ; @_ZN7rocprim17ROCPRIM_400000_NS6detail17trampoline_kernelINS0_14default_configENS1_21merge_config_selectorIiNS0_10empty_typeEEEZNS1_10merge_implIS3_N6thrust23THRUST_200600_302600_NS6detail15normal_iteratorINS9_10device_ptrIKiEEEESF_NSB_INSC_IiEEEEPS5_SI_SI_NS9_4lessIiEEEE10hipError_tPvRmT0_T1_T2_T3_T4_T5_mmT6_P12ihipStream_tbEUlT_E0_NS1_11comp_targetILNS1_3genE0ELNS1_11target_archE4294967295ELNS1_3gpuE0ELNS1_3repE0EEENS1_30default_config_static_selectorELNS0_4arch9wavefront6targetE0EEEvSP_
; %bb.0:
	.section	.rodata,"a",@progbits
	.p2align	6, 0x0
	.amdhsa_kernel _ZN7rocprim17ROCPRIM_400000_NS6detail17trampoline_kernelINS0_14default_configENS1_21merge_config_selectorIiNS0_10empty_typeEEEZNS1_10merge_implIS3_N6thrust23THRUST_200600_302600_NS6detail15normal_iteratorINS9_10device_ptrIKiEEEESF_NSB_INSC_IiEEEEPS5_SI_SI_NS9_4lessIiEEEE10hipError_tPvRmT0_T1_T2_T3_T4_T5_mmT6_P12ihipStream_tbEUlT_E0_NS1_11comp_targetILNS1_3genE0ELNS1_11target_archE4294967295ELNS1_3gpuE0ELNS1_3repE0EEENS1_30default_config_static_selectorELNS0_4arch9wavefront6targetE0EEEvSP_
		.amdhsa_group_segment_fixed_size 0
		.amdhsa_private_segment_fixed_size 0
		.amdhsa_kernarg_size 88
		.amdhsa_user_sgpr_count 15
		.amdhsa_user_sgpr_dispatch_ptr 0
		.amdhsa_user_sgpr_queue_ptr 0
		.amdhsa_user_sgpr_kernarg_segment_ptr 1
		.amdhsa_user_sgpr_dispatch_id 0
		.amdhsa_user_sgpr_private_segment_size 0
		.amdhsa_wavefront_size32 1
		.amdhsa_uses_dynamic_stack 0
		.amdhsa_enable_private_segment 0
		.amdhsa_system_sgpr_workgroup_id_x 1
		.amdhsa_system_sgpr_workgroup_id_y 0
		.amdhsa_system_sgpr_workgroup_id_z 0
		.amdhsa_system_sgpr_workgroup_info 0
		.amdhsa_system_vgpr_workitem_id 0
		.amdhsa_next_free_vgpr 1
		.amdhsa_next_free_sgpr 1
		.amdhsa_reserve_vcc 0
		.amdhsa_float_round_mode_32 0
		.amdhsa_float_round_mode_16_64 0
		.amdhsa_float_denorm_mode_32 3
		.amdhsa_float_denorm_mode_16_64 3
		.amdhsa_dx10_clamp 1
		.amdhsa_ieee_mode 1
		.amdhsa_fp16_overflow 0
		.amdhsa_workgroup_processor_mode 1
		.amdhsa_memory_ordered 1
		.amdhsa_forward_progress 0
		.amdhsa_shared_vgpr_count 0
		.amdhsa_exception_fp_ieee_invalid_op 0
		.amdhsa_exception_fp_denorm_src 0
		.amdhsa_exception_fp_ieee_div_zero 0
		.amdhsa_exception_fp_ieee_overflow 0
		.amdhsa_exception_fp_ieee_underflow 0
		.amdhsa_exception_fp_ieee_inexact 0
		.amdhsa_exception_int_div_zero 0
	.end_amdhsa_kernel
	.section	.text._ZN7rocprim17ROCPRIM_400000_NS6detail17trampoline_kernelINS0_14default_configENS1_21merge_config_selectorIiNS0_10empty_typeEEEZNS1_10merge_implIS3_N6thrust23THRUST_200600_302600_NS6detail15normal_iteratorINS9_10device_ptrIKiEEEESF_NSB_INSC_IiEEEEPS5_SI_SI_NS9_4lessIiEEEE10hipError_tPvRmT0_T1_T2_T3_T4_T5_mmT6_P12ihipStream_tbEUlT_E0_NS1_11comp_targetILNS1_3genE0ELNS1_11target_archE4294967295ELNS1_3gpuE0ELNS1_3repE0EEENS1_30default_config_static_selectorELNS0_4arch9wavefront6targetE0EEEvSP_,"axG",@progbits,_ZN7rocprim17ROCPRIM_400000_NS6detail17trampoline_kernelINS0_14default_configENS1_21merge_config_selectorIiNS0_10empty_typeEEEZNS1_10merge_implIS3_N6thrust23THRUST_200600_302600_NS6detail15normal_iteratorINS9_10device_ptrIKiEEEESF_NSB_INSC_IiEEEEPS5_SI_SI_NS9_4lessIiEEEE10hipError_tPvRmT0_T1_T2_T3_T4_T5_mmT6_P12ihipStream_tbEUlT_E0_NS1_11comp_targetILNS1_3genE0ELNS1_11target_archE4294967295ELNS1_3gpuE0ELNS1_3repE0EEENS1_30default_config_static_selectorELNS0_4arch9wavefront6targetE0EEEvSP_,comdat
.Lfunc_end10:
	.size	_ZN7rocprim17ROCPRIM_400000_NS6detail17trampoline_kernelINS0_14default_configENS1_21merge_config_selectorIiNS0_10empty_typeEEEZNS1_10merge_implIS3_N6thrust23THRUST_200600_302600_NS6detail15normal_iteratorINS9_10device_ptrIKiEEEESF_NSB_INSC_IiEEEEPS5_SI_SI_NS9_4lessIiEEEE10hipError_tPvRmT0_T1_T2_T3_T4_T5_mmT6_P12ihipStream_tbEUlT_E0_NS1_11comp_targetILNS1_3genE0ELNS1_11target_archE4294967295ELNS1_3gpuE0ELNS1_3repE0EEENS1_30default_config_static_selectorELNS0_4arch9wavefront6targetE0EEEvSP_, .Lfunc_end10-_ZN7rocprim17ROCPRIM_400000_NS6detail17trampoline_kernelINS0_14default_configENS1_21merge_config_selectorIiNS0_10empty_typeEEEZNS1_10merge_implIS3_N6thrust23THRUST_200600_302600_NS6detail15normal_iteratorINS9_10device_ptrIKiEEEESF_NSB_INSC_IiEEEEPS5_SI_SI_NS9_4lessIiEEEE10hipError_tPvRmT0_T1_T2_T3_T4_T5_mmT6_P12ihipStream_tbEUlT_E0_NS1_11comp_targetILNS1_3genE0ELNS1_11target_archE4294967295ELNS1_3gpuE0ELNS1_3repE0EEENS1_30default_config_static_selectorELNS0_4arch9wavefront6targetE0EEEvSP_
                                        ; -- End function
	.section	.AMDGPU.csdata,"",@progbits
; Kernel info:
; codeLenInByte = 0
; NumSgprs: 0
; NumVgprs: 0
; ScratchSize: 0
; MemoryBound: 0
; FloatMode: 240
; IeeeMode: 1
; LDSByteSize: 0 bytes/workgroup (compile time only)
; SGPRBlocks: 0
; VGPRBlocks: 0
; NumSGPRsForWavesPerEU: 1
; NumVGPRsForWavesPerEU: 1
; Occupancy: 16
; WaveLimiterHint : 0
; COMPUTE_PGM_RSRC2:SCRATCH_EN: 0
; COMPUTE_PGM_RSRC2:USER_SGPR: 15
; COMPUTE_PGM_RSRC2:TRAP_HANDLER: 0
; COMPUTE_PGM_RSRC2:TGID_X_EN: 1
; COMPUTE_PGM_RSRC2:TGID_Y_EN: 0
; COMPUTE_PGM_RSRC2:TGID_Z_EN: 0
; COMPUTE_PGM_RSRC2:TIDIG_COMP_CNT: 0
	.section	.text._ZN7rocprim17ROCPRIM_400000_NS6detail17trampoline_kernelINS0_14default_configENS1_21merge_config_selectorIiNS0_10empty_typeEEEZNS1_10merge_implIS3_N6thrust23THRUST_200600_302600_NS6detail15normal_iteratorINS9_10device_ptrIKiEEEESF_NSB_INSC_IiEEEEPS5_SI_SI_NS9_4lessIiEEEE10hipError_tPvRmT0_T1_T2_T3_T4_T5_mmT6_P12ihipStream_tbEUlT_E0_NS1_11comp_targetILNS1_3genE5ELNS1_11target_archE942ELNS1_3gpuE9ELNS1_3repE0EEENS1_30default_config_static_selectorELNS0_4arch9wavefront6targetE0EEEvSP_,"axG",@progbits,_ZN7rocprim17ROCPRIM_400000_NS6detail17trampoline_kernelINS0_14default_configENS1_21merge_config_selectorIiNS0_10empty_typeEEEZNS1_10merge_implIS3_N6thrust23THRUST_200600_302600_NS6detail15normal_iteratorINS9_10device_ptrIKiEEEESF_NSB_INSC_IiEEEEPS5_SI_SI_NS9_4lessIiEEEE10hipError_tPvRmT0_T1_T2_T3_T4_T5_mmT6_P12ihipStream_tbEUlT_E0_NS1_11comp_targetILNS1_3genE5ELNS1_11target_archE942ELNS1_3gpuE9ELNS1_3repE0EEENS1_30default_config_static_selectorELNS0_4arch9wavefront6targetE0EEEvSP_,comdat
	.protected	_ZN7rocprim17ROCPRIM_400000_NS6detail17trampoline_kernelINS0_14default_configENS1_21merge_config_selectorIiNS0_10empty_typeEEEZNS1_10merge_implIS3_N6thrust23THRUST_200600_302600_NS6detail15normal_iteratorINS9_10device_ptrIKiEEEESF_NSB_INSC_IiEEEEPS5_SI_SI_NS9_4lessIiEEEE10hipError_tPvRmT0_T1_T2_T3_T4_T5_mmT6_P12ihipStream_tbEUlT_E0_NS1_11comp_targetILNS1_3genE5ELNS1_11target_archE942ELNS1_3gpuE9ELNS1_3repE0EEENS1_30default_config_static_selectorELNS0_4arch9wavefront6targetE0EEEvSP_ ; -- Begin function _ZN7rocprim17ROCPRIM_400000_NS6detail17trampoline_kernelINS0_14default_configENS1_21merge_config_selectorIiNS0_10empty_typeEEEZNS1_10merge_implIS3_N6thrust23THRUST_200600_302600_NS6detail15normal_iteratorINS9_10device_ptrIKiEEEESF_NSB_INSC_IiEEEEPS5_SI_SI_NS9_4lessIiEEEE10hipError_tPvRmT0_T1_T2_T3_T4_T5_mmT6_P12ihipStream_tbEUlT_E0_NS1_11comp_targetILNS1_3genE5ELNS1_11target_archE942ELNS1_3gpuE9ELNS1_3repE0EEENS1_30default_config_static_selectorELNS0_4arch9wavefront6targetE0EEEvSP_
	.globl	_ZN7rocprim17ROCPRIM_400000_NS6detail17trampoline_kernelINS0_14default_configENS1_21merge_config_selectorIiNS0_10empty_typeEEEZNS1_10merge_implIS3_N6thrust23THRUST_200600_302600_NS6detail15normal_iteratorINS9_10device_ptrIKiEEEESF_NSB_INSC_IiEEEEPS5_SI_SI_NS9_4lessIiEEEE10hipError_tPvRmT0_T1_T2_T3_T4_T5_mmT6_P12ihipStream_tbEUlT_E0_NS1_11comp_targetILNS1_3genE5ELNS1_11target_archE942ELNS1_3gpuE9ELNS1_3repE0EEENS1_30default_config_static_selectorELNS0_4arch9wavefront6targetE0EEEvSP_
	.p2align	8
	.type	_ZN7rocprim17ROCPRIM_400000_NS6detail17trampoline_kernelINS0_14default_configENS1_21merge_config_selectorIiNS0_10empty_typeEEEZNS1_10merge_implIS3_N6thrust23THRUST_200600_302600_NS6detail15normal_iteratorINS9_10device_ptrIKiEEEESF_NSB_INSC_IiEEEEPS5_SI_SI_NS9_4lessIiEEEE10hipError_tPvRmT0_T1_T2_T3_T4_T5_mmT6_P12ihipStream_tbEUlT_E0_NS1_11comp_targetILNS1_3genE5ELNS1_11target_archE942ELNS1_3gpuE9ELNS1_3repE0EEENS1_30default_config_static_selectorELNS0_4arch9wavefront6targetE0EEEvSP_,@function
_ZN7rocprim17ROCPRIM_400000_NS6detail17trampoline_kernelINS0_14default_configENS1_21merge_config_selectorIiNS0_10empty_typeEEEZNS1_10merge_implIS3_N6thrust23THRUST_200600_302600_NS6detail15normal_iteratorINS9_10device_ptrIKiEEEESF_NSB_INSC_IiEEEEPS5_SI_SI_NS9_4lessIiEEEE10hipError_tPvRmT0_T1_T2_T3_T4_T5_mmT6_P12ihipStream_tbEUlT_E0_NS1_11comp_targetILNS1_3genE5ELNS1_11target_archE942ELNS1_3gpuE9ELNS1_3repE0EEENS1_30default_config_static_selectorELNS0_4arch9wavefront6targetE0EEEvSP_: ; @_ZN7rocprim17ROCPRIM_400000_NS6detail17trampoline_kernelINS0_14default_configENS1_21merge_config_selectorIiNS0_10empty_typeEEEZNS1_10merge_implIS3_N6thrust23THRUST_200600_302600_NS6detail15normal_iteratorINS9_10device_ptrIKiEEEESF_NSB_INSC_IiEEEEPS5_SI_SI_NS9_4lessIiEEEE10hipError_tPvRmT0_T1_T2_T3_T4_T5_mmT6_P12ihipStream_tbEUlT_E0_NS1_11comp_targetILNS1_3genE5ELNS1_11target_archE942ELNS1_3gpuE9ELNS1_3repE0EEENS1_30default_config_static_selectorELNS0_4arch9wavefront6targetE0EEEvSP_
; %bb.0:
	.section	.rodata,"a",@progbits
	.p2align	6, 0x0
	.amdhsa_kernel _ZN7rocprim17ROCPRIM_400000_NS6detail17trampoline_kernelINS0_14default_configENS1_21merge_config_selectorIiNS0_10empty_typeEEEZNS1_10merge_implIS3_N6thrust23THRUST_200600_302600_NS6detail15normal_iteratorINS9_10device_ptrIKiEEEESF_NSB_INSC_IiEEEEPS5_SI_SI_NS9_4lessIiEEEE10hipError_tPvRmT0_T1_T2_T3_T4_T5_mmT6_P12ihipStream_tbEUlT_E0_NS1_11comp_targetILNS1_3genE5ELNS1_11target_archE942ELNS1_3gpuE9ELNS1_3repE0EEENS1_30default_config_static_selectorELNS0_4arch9wavefront6targetE0EEEvSP_
		.amdhsa_group_segment_fixed_size 0
		.amdhsa_private_segment_fixed_size 0
		.amdhsa_kernarg_size 88
		.amdhsa_user_sgpr_count 15
		.amdhsa_user_sgpr_dispatch_ptr 0
		.amdhsa_user_sgpr_queue_ptr 0
		.amdhsa_user_sgpr_kernarg_segment_ptr 1
		.amdhsa_user_sgpr_dispatch_id 0
		.amdhsa_user_sgpr_private_segment_size 0
		.amdhsa_wavefront_size32 1
		.amdhsa_uses_dynamic_stack 0
		.amdhsa_enable_private_segment 0
		.amdhsa_system_sgpr_workgroup_id_x 1
		.amdhsa_system_sgpr_workgroup_id_y 0
		.amdhsa_system_sgpr_workgroup_id_z 0
		.amdhsa_system_sgpr_workgroup_info 0
		.amdhsa_system_vgpr_workitem_id 0
		.amdhsa_next_free_vgpr 1
		.amdhsa_next_free_sgpr 1
		.amdhsa_reserve_vcc 0
		.amdhsa_float_round_mode_32 0
		.amdhsa_float_round_mode_16_64 0
		.amdhsa_float_denorm_mode_32 3
		.amdhsa_float_denorm_mode_16_64 3
		.amdhsa_dx10_clamp 1
		.amdhsa_ieee_mode 1
		.amdhsa_fp16_overflow 0
		.amdhsa_workgroup_processor_mode 1
		.amdhsa_memory_ordered 1
		.amdhsa_forward_progress 0
		.amdhsa_shared_vgpr_count 0
		.amdhsa_exception_fp_ieee_invalid_op 0
		.amdhsa_exception_fp_denorm_src 0
		.amdhsa_exception_fp_ieee_div_zero 0
		.amdhsa_exception_fp_ieee_overflow 0
		.amdhsa_exception_fp_ieee_underflow 0
		.amdhsa_exception_fp_ieee_inexact 0
		.amdhsa_exception_int_div_zero 0
	.end_amdhsa_kernel
	.section	.text._ZN7rocprim17ROCPRIM_400000_NS6detail17trampoline_kernelINS0_14default_configENS1_21merge_config_selectorIiNS0_10empty_typeEEEZNS1_10merge_implIS3_N6thrust23THRUST_200600_302600_NS6detail15normal_iteratorINS9_10device_ptrIKiEEEESF_NSB_INSC_IiEEEEPS5_SI_SI_NS9_4lessIiEEEE10hipError_tPvRmT0_T1_T2_T3_T4_T5_mmT6_P12ihipStream_tbEUlT_E0_NS1_11comp_targetILNS1_3genE5ELNS1_11target_archE942ELNS1_3gpuE9ELNS1_3repE0EEENS1_30default_config_static_selectorELNS0_4arch9wavefront6targetE0EEEvSP_,"axG",@progbits,_ZN7rocprim17ROCPRIM_400000_NS6detail17trampoline_kernelINS0_14default_configENS1_21merge_config_selectorIiNS0_10empty_typeEEEZNS1_10merge_implIS3_N6thrust23THRUST_200600_302600_NS6detail15normal_iteratorINS9_10device_ptrIKiEEEESF_NSB_INSC_IiEEEEPS5_SI_SI_NS9_4lessIiEEEE10hipError_tPvRmT0_T1_T2_T3_T4_T5_mmT6_P12ihipStream_tbEUlT_E0_NS1_11comp_targetILNS1_3genE5ELNS1_11target_archE942ELNS1_3gpuE9ELNS1_3repE0EEENS1_30default_config_static_selectorELNS0_4arch9wavefront6targetE0EEEvSP_,comdat
.Lfunc_end11:
	.size	_ZN7rocprim17ROCPRIM_400000_NS6detail17trampoline_kernelINS0_14default_configENS1_21merge_config_selectorIiNS0_10empty_typeEEEZNS1_10merge_implIS3_N6thrust23THRUST_200600_302600_NS6detail15normal_iteratorINS9_10device_ptrIKiEEEESF_NSB_INSC_IiEEEEPS5_SI_SI_NS9_4lessIiEEEE10hipError_tPvRmT0_T1_T2_T3_T4_T5_mmT6_P12ihipStream_tbEUlT_E0_NS1_11comp_targetILNS1_3genE5ELNS1_11target_archE942ELNS1_3gpuE9ELNS1_3repE0EEENS1_30default_config_static_selectorELNS0_4arch9wavefront6targetE0EEEvSP_, .Lfunc_end11-_ZN7rocprim17ROCPRIM_400000_NS6detail17trampoline_kernelINS0_14default_configENS1_21merge_config_selectorIiNS0_10empty_typeEEEZNS1_10merge_implIS3_N6thrust23THRUST_200600_302600_NS6detail15normal_iteratorINS9_10device_ptrIKiEEEESF_NSB_INSC_IiEEEEPS5_SI_SI_NS9_4lessIiEEEE10hipError_tPvRmT0_T1_T2_T3_T4_T5_mmT6_P12ihipStream_tbEUlT_E0_NS1_11comp_targetILNS1_3genE5ELNS1_11target_archE942ELNS1_3gpuE9ELNS1_3repE0EEENS1_30default_config_static_selectorELNS0_4arch9wavefront6targetE0EEEvSP_
                                        ; -- End function
	.section	.AMDGPU.csdata,"",@progbits
; Kernel info:
; codeLenInByte = 0
; NumSgprs: 0
; NumVgprs: 0
; ScratchSize: 0
; MemoryBound: 0
; FloatMode: 240
; IeeeMode: 1
; LDSByteSize: 0 bytes/workgroup (compile time only)
; SGPRBlocks: 0
; VGPRBlocks: 0
; NumSGPRsForWavesPerEU: 1
; NumVGPRsForWavesPerEU: 1
; Occupancy: 16
; WaveLimiterHint : 0
; COMPUTE_PGM_RSRC2:SCRATCH_EN: 0
; COMPUTE_PGM_RSRC2:USER_SGPR: 15
; COMPUTE_PGM_RSRC2:TRAP_HANDLER: 0
; COMPUTE_PGM_RSRC2:TGID_X_EN: 1
; COMPUTE_PGM_RSRC2:TGID_Y_EN: 0
; COMPUTE_PGM_RSRC2:TGID_Z_EN: 0
; COMPUTE_PGM_RSRC2:TIDIG_COMP_CNT: 0
	.section	.text._ZN7rocprim17ROCPRIM_400000_NS6detail17trampoline_kernelINS0_14default_configENS1_21merge_config_selectorIiNS0_10empty_typeEEEZNS1_10merge_implIS3_N6thrust23THRUST_200600_302600_NS6detail15normal_iteratorINS9_10device_ptrIKiEEEESF_NSB_INSC_IiEEEEPS5_SI_SI_NS9_4lessIiEEEE10hipError_tPvRmT0_T1_T2_T3_T4_T5_mmT6_P12ihipStream_tbEUlT_E0_NS1_11comp_targetILNS1_3genE4ELNS1_11target_archE910ELNS1_3gpuE8ELNS1_3repE0EEENS1_30default_config_static_selectorELNS0_4arch9wavefront6targetE0EEEvSP_,"axG",@progbits,_ZN7rocprim17ROCPRIM_400000_NS6detail17trampoline_kernelINS0_14default_configENS1_21merge_config_selectorIiNS0_10empty_typeEEEZNS1_10merge_implIS3_N6thrust23THRUST_200600_302600_NS6detail15normal_iteratorINS9_10device_ptrIKiEEEESF_NSB_INSC_IiEEEEPS5_SI_SI_NS9_4lessIiEEEE10hipError_tPvRmT0_T1_T2_T3_T4_T5_mmT6_P12ihipStream_tbEUlT_E0_NS1_11comp_targetILNS1_3genE4ELNS1_11target_archE910ELNS1_3gpuE8ELNS1_3repE0EEENS1_30default_config_static_selectorELNS0_4arch9wavefront6targetE0EEEvSP_,comdat
	.protected	_ZN7rocprim17ROCPRIM_400000_NS6detail17trampoline_kernelINS0_14default_configENS1_21merge_config_selectorIiNS0_10empty_typeEEEZNS1_10merge_implIS3_N6thrust23THRUST_200600_302600_NS6detail15normal_iteratorINS9_10device_ptrIKiEEEESF_NSB_INSC_IiEEEEPS5_SI_SI_NS9_4lessIiEEEE10hipError_tPvRmT0_T1_T2_T3_T4_T5_mmT6_P12ihipStream_tbEUlT_E0_NS1_11comp_targetILNS1_3genE4ELNS1_11target_archE910ELNS1_3gpuE8ELNS1_3repE0EEENS1_30default_config_static_selectorELNS0_4arch9wavefront6targetE0EEEvSP_ ; -- Begin function _ZN7rocprim17ROCPRIM_400000_NS6detail17trampoline_kernelINS0_14default_configENS1_21merge_config_selectorIiNS0_10empty_typeEEEZNS1_10merge_implIS3_N6thrust23THRUST_200600_302600_NS6detail15normal_iteratorINS9_10device_ptrIKiEEEESF_NSB_INSC_IiEEEEPS5_SI_SI_NS9_4lessIiEEEE10hipError_tPvRmT0_T1_T2_T3_T4_T5_mmT6_P12ihipStream_tbEUlT_E0_NS1_11comp_targetILNS1_3genE4ELNS1_11target_archE910ELNS1_3gpuE8ELNS1_3repE0EEENS1_30default_config_static_selectorELNS0_4arch9wavefront6targetE0EEEvSP_
	.globl	_ZN7rocprim17ROCPRIM_400000_NS6detail17trampoline_kernelINS0_14default_configENS1_21merge_config_selectorIiNS0_10empty_typeEEEZNS1_10merge_implIS3_N6thrust23THRUST_200600_302600_NS6detail15normal_iteratorINS9_10device_ptrIKiEEEESF_NSB_INSC_IiEEEEPS5_SI_SI_NS9_4lessIiEEEE10hipError_tPvRmT0_T1_T2_T3_T4_T5_mmT6_P12ihipStream_tbEUlT_E0_NS1_11comp_targetILNS1_3genE4ELNS1_11target_archE910ELNS1_3gpuE8ELNS1_3repE0EEENS1_30default_config_static_selectorELNS0_4arch9wavefront6targetE0EEEvSP_
	.p2align	8
	.type	_ZN7rocprim17ROCPRIM_400000_NS6detail17trampoline_kernelINS0_14default_configENS1_21merge_config_selectorIiNS0_10empty_typeEEEZNS1_10merge_implIS3_N6thrust23THRUST_200600_302600_NS6detail15normal_iteratorINS9_10device_ptrIKiEEEESF_NSB_INSC_IiEEEEPS5_SI_SI_NS9_4lessIiEEEE10hipError_tPvRmT0_T1_T2_T3_T4_T5_mmT6_P12ihipStream_tbEUlT_E0_NS1_11comp_targetILNS1_3genE4ELNS1_11target_archE910ELNS1_3gpuE8ELNS1_3repE0EEENS1_30default_config_static_selectorELNS0_4arch9wavefront6targetE0EEEvSP_,@function
_ZN7rocprim17ROCPRIM_400000_NS6detail17trampoline_kernelINS0_14default_configENS1_21merge_config_selectorIiNS0_10empty_typeEEEZNS1_10merge_implIS3_N6thrust23THRUST_200600_302600_NS6detail15normal_iteratorINS9_10device_ptrIKiEEEESF_NSB_INSC_IiEEEEPS5_SI_SI_NS9_4lessIiEEEE10hipError_tPvRmT0_T1_T2_T3_T4_T5_mmT6_P12ihipStream_tbEUlT_E0_NS1_11comp_targetILNS1_3genE4ELNS1_11target_archE910ELNS1_3gpuE8ELNS1_3repE0EEENS1_30default_config_static_selectorELNS0_4arch9wavefront6targetE0EEEvSP_: ; @_ZN7rocprim17ROCPRIM_400000_NS6detail17trampoline_kernelINS0_14default_configENS1_21merge_config_selectorIiNS0_10empty_typeEEEZNS1_10merge_implIS3_N6thrust23THRUST_200600_302600_NS6detail15normal_iteratorINS9_10device_ptrIKiEEEESF_NSB_INSC_IiEEEEPS5_SI_SI_NS9_4lessIiEEEE10hipError_tPvRmT0_T1_T2_T3_T4_T5_mmT6_P12ihipStream_tbEUlT_E0_NS1_11comp_targetILNS1_3genE4ELNS1_11target_archE910ELNS1_3gpuE8ELNS1_3repE0EEENS1_30default_config_static_selectorELNS0_4arch9wavefront6targetE0EEEvSP_
; %bb.0:
	.section	.rodata,"a",@progbits
	.p2align	6, 0x0
	.amdhsa_kernel _ZN7rocprim17ROCPRIM_400000_NS6detail17trampoline_kernelINS0_14default_configENS1_21merge_config_selectorIiNS0_10empty_typeEEEZNS1_10merge_implIS3_N6thrust23THRUST_200600_302600_NS6detail15normal_iteratorINS9_10device_ptrIKiEEEESF_NSB_INSC_IiEEEEPS5_SI_SI_NS9_4lessIiEEEE10hipError_tPvRmT0_T1_T2_T3_T4_T5_mmT6_P12ihipStream_tbEUlT_E0_NS1_11comp_targetILNS1_3genE4ELNS1_11target_archE910ELNS1_3gpuE8ELNS1_3repE0EEENS1_30default_config_static_selectorELNS0_4arch9wavefront6targetE0EEEvSP_
		.amdhsa_group_segment_fixed_size 0
		.amdhsa_private_segment_fixed_size 0
		.amdhsa_kernarg_size 88
		.amdhsa_user_sgpr_count 15
		.amdhsa_user_sgpr_dispatch_ptr 0
		.amdhsa_user_sgpr_queue_ptr 0
		.amdhsa_user_sgpr_kernarg_segment_ptr 1
		.amdhsa_user_sgpr_dispatch_id 0
		.amdhsa_user_sgpr_private_segment_size 0
		.amdhsa_wavefront_size32 1
		.amdhsa_uses_dynamic_stack 0
		.amdhsa_enable_private_segment 0
		.amdhsa_system_sgpr_workgroup_id_x 1
		.amdhsa_system_sgpr_workgroup_id_y 0
		.amdhsa_system_sgpr_workgroup_id_z 0
		.amdhsa_system_sgpr_workgroup_info 0
		.amdhsa_system_vgpr_workitem_id 0
		.amdhsa_next_free_vgpr 1
		.amdhsa_next_free_sgpr 1
		.amdhsa_reserve_vcc 0
		.amdhsa_float_round_mode_32 0
		.amdhsa_float_round_mode_16_64 0
		.amdhsa_float_denorm_mode_32 3
		.amdhsa_float_denorm_mode_16_64 3
		.amdhsa_dx10_clamp 1
		.amdhsa_ieee_mode 1
		.amdhsa_fp16_overflow 0
		.amdhsa_workgroup_processor_mode 1
		.amdhsa_memory_ordered 1
		.amdhsa_forward_progress 0
		.amdhsa_shared_vgpr_count 0
		.amdhsa_exception_fp_ieee_invalid_op 0
		.amdhsa_exception_fp_denorm_src 0
		.amdhsa_exception_fp_ieee_div_zero 0
		.amdhsa_exception_fp_ieee_overflow 0
		.amdhsa_exception_fp_ieee_underflow 0
		.amdhsa_exception_fp_ieee_inexact 0
		.amdhsa_exception_int_div_zero 0
	.end_amdhsa_kernel
	.section	.text._ZN7rocprim17ROCPRIM_400000_NS6detail17trampoline_kernelINS0_14default_configENS1_21merge_config_selectorIiNS0_10empty_typeEEEZNS1_10merge_implIS3_N6thrust23THRUST_200600_302600_NS6detail15normal_iteratorINS9_10device_ptrIKiEEEESF_NSB_INSC_IiEEEEPS5_SI_SI_NS9_4lessIiEEEE10hipError_tPvRmT0_T1_T2_T3_T4_T5_mmT6_P12ihipStream_tbEUlT_E0_NS1_11comp_targetILNS1_3genE4ELNS1_11target_archE910ELNS1_3gpuE8ELNS1_3repE0EEENS1_30default_config_static_selectorELNS0_4arch9wavefront6targetE0EEEvSP_,"axG",@progbits,_ZN7rocprim17ROCPRIM_400000_NS6detail17trampoline_kernelINS0_14default_configENS1_21merge_config_selectorIiNS0_10empty_typeEEEZNS1_10merge_implIS3_N6thrust23THRUST_200600_302600_NS6detail15normal_iteratorINS9_10device_ptrIKiEEEESF_NSB_INSC_IiEEEEPS5_SI_SI_NS9_4lessIiEEEE10hipError_tPvRmT0_T1_T2_T3_T4_T5_mmT6_P12ihipStream_tbEUlT_E0_NS1_11comp_targetILNS1_3genE4ELNS1_11target_archE910ELNS1_3gpuE8ELNS1_3repE0EEENS1_30default_config_static_selectorELNS0_4arch9wavefront6targetE0EEEvSP_,comdat
.Lfunc_end12:
	.size	_ZN7rocprim17ROCPRIM_400000_NS6detail17trampoline_kernelINS0_14default_configENS1_21merge_config_selectorIiNS0_10empty_typeEEEZNS1_10merge_implIS3_N6thrust23THRUST_200600_302600_NS6detail15normal_iteratorINS9_10device_ptrIKiEEEESF_NSB_INSC_IiEEEEPS5_SI_SI_NS9_4lessIiEEEE10hipError_tPvRmT0_T1_T2_T3_T4_T5_mmT6_P12ihipStream_tbEUlT_E0_NS1_11comp_targetILNS1_3genE4ELNS1_11target_archE910ELNS1_3gpuE8ELNS1_3repE0EEENS1_30default_config_static_selectorELNS0_4arch9wavefront6targetE0EEEvSP_, .Lfunc_end12-_ZN7rocprim17ROCPRIM_400000_NS6detail17trampoline_kernelINS0_14default_configENS1_21merge_config_selectorIiNS0_10empty_typeEEEZNS1_10merge_implIS3_N6thrust23THRUST_200600_302600_NS6detail15normal_iteratorINS9_10device_ptrIKiEEEESF_NSB_INSC_IiEEEEPS5_SI_SI_NS9_4lessIiEEEE10hipError_tPvRmT0_T1_T2_T3_T4_T5_mmT6_P12ihipStream_tbEUlT_E0_NS1_11comp_targetILNS1_3genE4ELNS1_11target_archE910ELNS1_3gpuE8ELNS1_3repE0EEENS1_30default_config_static_selectorELNS0_4arch9wavefront6targetE0EEEvSP_
                                        ; -- End function
	.section	.AMDGPU.csdata,"",@progbits
; Kernel info:
; codeLenInByte = 0
; NumSgprs: 0
; NumVgprs: 0
; ScratchSize: 0
; MemoryBound: 0
; FloatMode: 240
; IeeeMode: 1
; LDSByteSize: 0 bytes/workgroup (compile time only)
; SGPRBlocks: 0
; VGPRBlocks: 0
; NumSGPRsForWavesPerEU: 1
; NumVGPRsForWavesPerEU: 1
; Occupancy: 16
; WaveLimiterHint : 0
; COMPUTE_PGM_RSRC2:SCRATCH_EN: 0
; COMPUTE_PGM_RSRC2:USER_SGPR: 15
; COMPUTE_PGM_RSRC2:TRAP_HANDLER: 0
; COMPUTE_PGM_RSRC2:TGID_X_EN: 1
; COMPUTE_PGM_RSRC2:TGID_Y_EN: 0
; COMPUTE_PGM_RSRC2:TGID_Z_EN: 0
; COMPUTE_PGM_RSRC2:TIDIG_COMP_CNT: 0
	.section	.text._ZN7rocprim17ROCPRIM_400000_NS6detail17trampoline_kernelINS0_14default_configENS1_21merge_config_selectorIiNS0_10empty_typeEEEZNS1_10merge_implIS3_N6thrust23THRUST_200600_302600_NS6detail15normal_iteratorINS9_10device_ptrIKiEEEESF_NSB_INSC_IiEEEEPS5_SI_SI_NS9_4lessIiEEEE10hipError_tPvRmT0_T1_T2_T3_T4_T5_mmT6_P12ihipStream_tbEUlT_E0_NS1_11comp_targetILNS1_3genE3ELNS1_11target_archE908ELNS1_3gpuE7ELNS1_3repE0EEENS1_30default_config_static_selectorELNS0_4arch9wavefront6targetE0EEEvSP_,"axG",@progbits,_ZN7rocprim17ROCPRIM_400000_NS6detail17trampoline_kernelINS0_14default_configENS1_21merge_config_selectorIiNS0_10empty_typeEEEZNS1_10merge_implIS3_N6thrust23THRUST_200600_302600_NS6detail15normal_iteratorINS9_10device_ptrIKiEEEESF_NSB_INSC_IiEEEEPS5_SI_SI_NS9_4lessIiEEEE10hipError_tPvRmT0_T1_T2_T3_T4_T5_mmT6_P12ihipStream_tbEUlT_E0_NS1_11comp_targetILNS1_3genE3ELNS1_11target_archE908ELNS1_3gpuE7ELNS1_3repE0EEENS1_30default_config_static_selectorELNS0_4arch9wavefront6targetE0EEEvSP_,comdat
	.protected	_ZN7rocprim17ROCPRIM_400000_NS6detail17trampoline_kernelINS0_14default_configENS1_21merge_config_selectorIiNS0_10empty_typeEEEZNS1_10merge_implIS3_N6thrust23THRUST_200600_302600_NS6detail15normal_iteratorINS9_10device_ptrIKiEEEESF_NSB_INSC_IiEEEEPS5_SI_SI_NS9_4lessIiEEEE10hipError_tPvRmT0_T1_T2_T3_T4_T5_mmT6_P12ihipStream_tbEUlT_E0_NS1_11comp_targetILNS1_3genE3ELNS1_11target_archE908ELNS1_3gpuE7ELNS1_3repE0EEENS1_30default_config_static_selectorELNS0_4arch9wavefront6targetE0EEEvSP_ ; -- Begin function _ZN7rocprim17ROCPRIM_400000_NS6detail17trampoline_kernelINS0_14default_configENS1_21merge_config_selectorIiNS0_10empty_typeEEEZNS1_10merge_implIS3_N6thrust23THRUST_200600_302600_NS6detail15normal_iteratorINS9_10device_ptrIKiEEEESF_NSB_INSC_IiEEEEPS5_SI_SI_NS9_4lessIiEEEE10hipError_tPvRmT0_T1_T2_T3_T4_T5_mmT6_P12ihipStream_tbEUlT_E0_NS1_11comp_targetILNS1_3genE3ELNS1_11target_archE908ELNS1_3gpuE7ELNS1_3repE0EEENS1_30default_config_static_selectorELNS0_4arch9wavefront6targetE0EEEvSP_
	.globl	_ZN7rocprim17ROCPRIM_400000_NS6detail17trampoline_kernelINS0_14default_configENS1_21merge_config_selectorIiNS0_10empty_typeEEEZNS1_10merge_implIS3_N6thrust23THRUST_200600_302600_NS6detail15normal_iteratorINS9_10device_ptrIKiEEEESF_NSB_INSC_IiEEEEPS5_SI_SI_NS9_4lessIiEEEE10hipError_tPvRmT0_T1_T2_T3_T4_T5_mmT6_P12ihipStream_tbEUlT_E0_NS1_11comp_targetILNS1_3genE3ELNS1_11target_archE908ELNS1_3gpuE7ELNS1_3repE0EEENS1_30default_config_static_selectorELNS0_4arch9wavefront6targetE0EEEvSP_
	.p2align	8
	.type	_ZN7rocprim17ROCPRIM_400000_NS6detail17trampoline_kernelINS0_14default_configENS1_21merge_config_selectorIiNS0_10empty_typeEEEZNS1_10merge_implIS3_N6thrust23THRUST_200600_302600_NS6detail15normal_iteratorINS9_10device_ptrIKiEEEESF_NSB_INSC_IiEEEEPS5_SI_SI_NS9_4lessIiEEEE10hipError_tPvRmT0_T1_T2_T3_T4_T5_mmT6_P12ihipStream_tbEUlT_E0_NS1_11comp_targetILNS1_3genE3ELNS1_11target_archE908ELNS1_3gpuE7ELNS1_3repE0EEENS1_30default_config_static_selectorELNS0_4arch9wavefront6targetE0EEEvSP_,@function
_ZN7rocprim17ROCPRIM_400000_NS6detail17trampoline_kernelINS0_14default_configENS1_21merge_config_selectorIiNS0_10empty_typeEEEZNS1_10merge_implIS3_N6thrust23THRUST_200600_302600_NS6detail15normal_iteratorINS9_10device_ptrIKiEEEESF_NSB_INSC_IiEEEEPS5_SI_SI_NS9_4lessIiEEEE10hipError_tPvRmT0_T1_T2_T3_T4_T5_mmT6_P12ihipStream_tbEUlT_E0_NS1_11comp_targetILNS1_3genE3ELNS1_11target_archE908ELNS1_3gpuE7ELNS1_3repE0EEENS1_30default_config_static_selectorELNS0_4arch9wavefront6targetE0EEEvSP_: ; @_ZN7rocprim17ROCPRIM_400000_NS6detail17trampoline_kernelINS0_14default_configENS1_21merge_config_selectorIiNS0_10empty_typeEEEZNS1_10merge_implIS3_N6thrust23THRUST_200600_302600_NS6detail15normal_iteratorINS9_10device_ptrIKiEEEESF_NSB_INSC_IiEEEEPS5_SI_SI_NS9_4lessIiEEEE10hipError_tPvRmT0_T1_T2_T3_T4_T5_mmT6_P12ihipStream_tbEUlT_E0_NS1_11comp_targetILNS1_3genE3ELNS1_11target_archE908ELNS1_3gpuE7ELNS1_3repE0EEENS1_30default_config_static_selectorELNS0_4arch9wavefront6targetE0EEEvSP_
; %bb.0:
	.section	.rodata,"a",@progbits
	.p2align	6, 0x0
	.amdhsa_kernel _ZN7rocprim17ROCPRIM_400000_NS6detail17trampoline_kernelINS0_14default_configENS1_21merge_config_selectorIiNS0_10empty_typeEEEZNS1_10merge_implIS3_N6thrust23THRUST_200600_302600_NS6detail15normal_iteratorINS9_10device_ptrIKiEEEESF_NSB_INSC_IiEEEEPS5_SI_SI_NS9_4lessIiEEEE10hipError_tPvRmT0_T1_T2_T3_T4_T5_mmT6_P12ihipStream_tbEUlT_E0_NS1_11comp_targetILNS1_3genE3ELNS1_11target_archE908ELNS1_3gpuE7ELNS1_3repE0EEENS1_30default_config_static_selectorELNS0_4arch9wavefront6targetE0EEEvSP_
		.amdhsa_group_segment_fixed_size 0
		.amdhsa_private_segment_fixed_size 0
		.amdhsa_kernarg_size 88
		.amdhsa_user_sgpr_count 15
		.amdhsa_user_sgpr_dispatch_ptr 0
		.amdhsa_user_sgpr_queue_ptr 0
		.amdhsa_user_sgpr_kernarg_segment_ptr 1
		.amdhsa_user_sgpr_dispatch_id 0
		.amdhsa_user_sgpr_private_segment_size 0
		.amdhsa_wavefront_size32 1
		.amdhsa_uses_dynamic_stack 0
		.amdhsa_enable_private_segment 0
		.amdhsa_system_sgpr_workgroup_id_x 1
		.amdhsa_system_sgpr_workgroup_id_y 0
		.amdhsa_system_sgpr_workgroup_id_z 0
		.amdhsa_system_sgpr_workgroup_info 0
		.amdhsa_system_vgpr_workitem_id 0
		.amdhsa_next_free_vgpr 1
		.amdhsa_next_free_sgpr 1
		.amdhsa_reserve_vcc 0
		.amdhsa_float_round_mode_32 0
		.amdhsa_float_round_mode_16_64 0
		.amdhsa_float_denorm_mode_32 3
		.amdhsa_float_denorm_mode_16_64 3
		.amdhsa_dx10_clamp 1
		.amdhsa_ieee_mode 1
		.amdhsa_fp16_overflow 0
		.amdhsa_workgroup_processor_mode 1
		.amdhsa_memory_ordered 1
		.amdhsa_forward_progress 0
		.amdhsa_shared_vgpr_count 0
		.amdhsa_exception_fp_ieee_invalid_op 0
		.amdhsa_exception_fp_denorm_src 0
		.amdhsa_exception_fp_ieee_div_zero 0
		.amdhsa_exception_fp_ieee_overflow 0
		.amdhsa_exception_fp_ieee_underflow 0
		.amdhsa_exception_fp_ieee_inexact 0
		.amdhsa_exception_int_div_zero 0
	.end_amdhsa_kernel
	.section	.text._ZN7rocprim17ROCPRIM_400000_NS6detail17trampoline_kernelINS0_14default_configENS1_21merge_config_selectorIiNS0_10empty_typeEEEZNS1_10merge_implIS3_N6thrust23THRUST_200600_302600_NS6detail15normal_iteratorINS9_10device_ptrIKiEEEESF_NSB_INSC_IiEEEEPS5_SI_SI_NS9_4lessIiEEEE10hipError_tPvRmT0_T1_T2_T3_T4_T5_mmT6_P12ihipStream_tbEUlT_E0_NS1_11comp_targetILNS1_3genE3ELNS1_11target_archE908ELNS1_3gpuE7ELNS1_3repE0EEENS1_30default_config_static_selectorELNS0_4arch9wavefront6targetE0EEEvSP_,"axG",@progbits,_ZN7rocprim17ROCPRIM_400000_NS6detail17trampoline_kernelINS0_14default_configENS1_21merge_config_selectorIiNS0_10empty_typeEEEZNS1_10merge_implIS3_N6thrust23THRUST_200600_302600_NS6detail15normal_iteratorINS9_10device_ptrIKiEEEESF_NSB_INSC_IiEEEEPS5_SI_SI_NS9_4lessIiEEEE10hipError_tPvRmT0_T1_T2_T3_T4_T5_mmT6_P12ihipStream_tbEUlT_E0_NS1_11comp_targetILNS1_3genE3ELNS1_11target_archE908ELNS1_3gpuE7ELNS1_3repE0EEENS1_30default_config_static_selectorELNS0_4arch9wavefront6targetE0EEEvSP_,comdat
.Lfunc_end13:
	.size	_ZN7rocprim17ROCPRIM_400000_NS6detail17trampoline_kernelINS0_14default_configENS1_21merge_config_selectorIiNS0_10empty_typeEEEZNS1_10merge_implIS3_N6thrust23THRUST_200600_302600_NS6detail15normal_iteratorINS9_10device_ptrIKiEEEESF_NSB_INSC_IiEEEEPS5_SI_SI_NS9_4lessIiEEEE10hipError_tPvRmT0_T1_T2_T3_T4_T5_mmT6_P12ihipStream_tbEUlT_E0_NS1_11comp_targetILNS1_3genE3ELNS1_11target_archE908ELNS1_3gpuE7ELNS1_3repE0EEENS1_30default_config_static_selectorELNS0_4arch9wavefront6targetE0EEEvSP_, .Lfunc_end13-_ZN7rocprim17ROCPRIM_400000_NS6detail17trampoline_kernelINS0_14default_configENS1_21merge_config_selectorIiNS0_10empty_typeEEEZNS1_10merge_implIS3_N6thrust23THRUST_200600_302600_NS6detail15normal_iteratorINS9_10device_ptrIKiEEEESF_NSB_INSC_IiEEEEPS5_SI_SI_NS9_4lessIiEEEE10hipError_tPvRmT0_T1_T2_T3_T4_T5_mmT6_P12ihipStream_tbEUlT_E0_NS1_11comp_targetILNS1_3genE3ELNS1_11target_archE908ELNS1_3gpuE7ELNS1_3repE0EEENS1_30default_config_static_selectorELNS0_4arch9wavefront6targetE0EEEvSP_
                                        ; -- End function
	.section	.AMDGPU.csdata,"",@progbits
; Kernel info:
; codeLenInByte = 0
; NumSgprs: 0
; NumVgprs: 0
; ScratchSize: 0
; MemoryBound: 0
; FloatMode: 240
; IeeeMode: 1
; LDSByteSize: 0 bytes/workgroup (compile time only)
; SGPRBlocks: 0
; VGPRBlocks: 0
; NumSGPRsForWavesPerEU: 1
; NumVGPRsForWavesPerEU: 1
; Occupancy: 16
; WaveLimiterHint : 0
; COMPUTE_PGM_RSRC2:SCRATCH_EN: 0
; COMPUTE_PGM_RSRC2:USER_SGPR: 15
; COMPUTE_PGM_RSRC2:TRAP_HANDLER: 0
; COMPUTE_PGM_RSRC2:TGID_X_EN: 1
; COMPUTE_PGM_RSRC2:TGID_Y_EN: 0
; COMPUTE_PGM_RSRC2:TGID_Z_EN: 0
; COMPUTE_PGM_RSRC2:TIDIG_COMP_CNT: 0
	.section	.text._ZN7rocprim17ROCPRIM_400000_NS6detail17trampoline_kernelINS0_14default_configENS1_21merge_config_selectorIiNS0_10empty_typeEEEZNS1_10merge_implIS3_N6thrust23THRUST_200600_302600_NS6detail15normal_iteratorINS9_10device_ptrIKiEEEESF_NSB_INSC_IiEEEEPS5_SI_SI_NS9_4lessIiEEEE10hipError_tPvRmT0_T1_T2_T3_T4_T5_mmT6_P12ihipStream_tbEUlT_E0_NS1_11comp_targetILNS1_3genE2ELNS1_11target_archE906ELNS1_3gpuE6ELNS1_3repE0EEENS1_30default_config_static_selectorELNS0_4arch9wavefront6targetE0EEEvSP_,"axG",@progbits,_ZN7rocprim17ROCPRIM_400000_NS6detail17trampoline_kernelINS0_14default_configENS1_21merge_config_selectorIiNS0_10empty_typeEEEZNS1_10merge_implIS3_N6thrust23THRUST_200600_302600_NS6detail15normal_iteratorINS9_10device_ptrIKiEEEESF_NSB_INSC_IiEEEEPS5_SI_SI_NS9_4lessIiEEEE10hipError_tPvRmT0_T1_T2_T3_T4_T5_mmT6_P12ihipStream_tbEUlT_E0_NS1_11comp_targetILNS1_3genE2ELNS1_11target_archE906ELNS1_3gpuE6ELNS1_3repE0EEENS1_30default_config_static_selectorELNS0_4arch9wavefront6targetE0EEEvSP_,comdat
	.protected	_ZN7rocprim17ROCPRIM_400000_NS6detail17trampoline_kernelINS0_14default_configENS1_21merge_config_selectorIiNS0_10empty_typeEEEZNS1_10merge_implIS3_N6thrust23THRUST_200600_302600_NS6detail15normal_iteratorINS9_10device_ptrIKiEEEESF_NSB_INSC_IiEEEEPS5_SI_SI_NS9_4lessIiEEEE10hipError_tPvRmT0_T1_T2_T3_T4_T5_mmT6_P12ihipStream_tbEUlT_E0_NS1_11comp_targetILNS1_3genE2ELNS1_11target_archE906ELNS1_3gpuE6ELNS1_3repE0EEENS1_30default_config_static_selectorELNS0_4arch9wavefront6targetE0EEEvSP_ ; -- Begin function _ZN7rocprim17ROCPRIM_400000_NS6detail17trampoline_kernelINS0_14default_configENS1_21merge_config_selectorIiNS0_10empty_typeEEEZNS1_10merge_implIS3_N6thrust23THRUST_200600_302600_NS6detail15normal_iteratorINS9_10device_ptrIKiEEEESF_NSB_INSC_IiEEEEPS5_SI_SI_NS9_4lessIiEEEE10hipError_tPvRmT0_T1_T2_T3_T4_T5_mmT6_P12ihipStream_tbEUlT_E0_NS1_11comp_targetILNS1_3genE2ELNS1_11target_archE906ELNS1_3gpuE6ELNS1_3repE0EEENS1_30default_config_static_selectorELNS0_4arch9wavefront6targetE0EEEvSP_
	.globl	_ZN7rocprim17ROCPRIM_400000_NS6detail17trampoline_kernelINS0_14default_configENS1_21merge_config_selectorIiNS0_10empty_typeEEEZNS1_10merge_implIS3_N6thrust23THRUST_200600_302600_NS6detail15normal_iteratorINS9_10device_ptrIKiEEEESF_NSB_INSC_IiEEEEPS5_SI_SI_NS9_4lessIiEEEE10hipError_tPvRmT0_T1_T2_T3_T4_T5_mmT6_P12ihipStream_tbEUlT_E0_NS1_11comp_targetILNS1_3genE2ELNS1_11target_archE906ELNS1_3gpuE6ELNS1_3repE0EEENS1_30default_config_static_selectorELNS0_4arch9wavefront6targetE0EEEvSP_
	.p2align	8
	.type	_ZN7rocprim17ROCPRIM_400000_NS6detail17trampoline_kernelINS0_14default_configENS1_21merge_config_selectorIiNS0_10empty_typeEEEZNS1_10merge_implIS3_N6thrust23THRUST_200600_302600_NS6detail15normal_iteratorINS9_10device_ptrIKiEEEESF_NSB_INSC_IiEEEEPS5_SI_SI_NS9_4lessIiEEEE10hipError_tPvRmT0_T1_T2_T3_T4_T5_mmT6_P12ihipStream_tbEUlT_E0_NS1_11comp_targetILNS1_3genE2ELNS1_11target_archE906ELNS1_3gpuE6ELNS1_3repE0EEENS1_30default_config_static_selectorELNS0_4arch9wavefront6targetE0EEEvSP_,@function
_ZN7rocprim17ROCPRIM_400000_NS6detail17trampoline_kernelINS0_14default_configENS1_21merge_config_selectorIiNS0_10empty_typeEEEZNS1_10merge_implIS3_N6thrust23THRUST_200600_302600_NS6detail15normal_iteratorINS9_10device_ptrIKiEEEESF_NSB_INSC_IiEEEEPS5_SI_SI_NS9_4lessIiEEEE10hipError_tPvRmT0_T1_T2_T3_T4_T5_mmT6_P12ihipStream_tbEUlT_E0_NS1_11comp_targetILNS1_3genE2ELNS1_11target_archE906ELNS1_3gpuE6ELNS1_3repE0EEENS1_30default_config_static_selectorELNS0_4arch9wavefront6targetE0EEEvSP_: ; @_ZN7rocprim17ROCPRIM_400000_NS6detail17trampoline_kernelINS0_14default_configENS1_21merge_config_selectorIiNS0_10empty_typeEEEZNS1_10merge_implIS3_N6thrust23THRUST_200600_302600_NS6detail15normal_iteratorINS9_10device_ptrIKiEEEESF_NSB_INSC_IiEEEEPS5_SI_SI_NS9_4lessIiEEEE10hipError_tPvRmT0_T1_T2_T3_T4_T5_mmT6_P12ihipStream_tbEUlT_E0_NS1_11comp_targetILNS1_3genE2ELNS1_11target_archE906ELNS1_3gpuE6ELNS1_3repE0EEENS1_30default_config_static_selectorELNS0_4arch9wavefront6targetE0EEEvSP_
; %bb.0:
	.section	.rodata,"a",@progbits
	.p2align	6, 0x0
	.amdhsa_kernel _ZN7rocprim17ROCPRIM_400000_NS6detail17trampoline_kernelINS0_14default_configENS1_21merge_config_selectorIiNS0_10empty_typeEEEZNS1_10merge_implIS3_N6thrust23THRUST_200600_302600_NS6detail15normal_iteratorINS9_10device_ptrIKiEEEESF_NSB_INSC_IiEEEEPS5_SI_SI_NS9_4lessIiEEEE10hipError_tPvRmT0_T1_T2_T3_T4_T5_mmT6_P12ihipStream_tbEUlT_E0_NS1_11comp_targetILNS1_3genE2ELNS1_11target_archE906ELNS1_3gpuE6ELNS1_3repE0EEENS1_30default_config_static_selectorELNS0_4arch9wavefront6targetE0EEEvSP_
		.amdhsa_group_segment_fixed_size 0
		.amdhsa_private_segment_fixed_size 0
		.amdhsa_kernarg_size 88
		.amdhsa_user_sgpr_count 15
		.amdhsa_user_sgpr_dispatch_ptr 0
		.amdhsa_user_sgpr_queue_ptr 0
		.amdhsa_user_sgpr_kernarg_segment_ptr 1
		.amdhsa_user_sgpr_dispatch_id 0
		.amdhsa_user_sgpr_private_segment_size 0
		.amdhsa_wavefront_size32 1
		.amdhsa_uses_dynamic_stack 0
		.amdhsa_enable_private_segment 0
		.amdhsa_system_sgpr_workgroup_id_x 1
		.amdhsa_system_sgpr_workgroup_id_y 0
		.amdhsa_system_sgpr_workgroup_id_z 0
		.amdhsa_system_sgpr_workgroup_info 0
		.amdhsa_system_vgpr_workitem_id 0
		.amdhsa_next_free_vgpr 1
		.amdhsa_next_free_sgpr 1
		.amdhsa_reserve_vcc 0
		.amdhsa_float_round_mode_32 0
		.amdhsa_float_round_mode_16_64 0
		.amdhsa_float_denorm_mode_32 3
		.amdhsa_float_denorm_mode_16_64 3
		.amdhsa_dx10_clamp 1
		.amdhsa_ieee_mode 1
		.amdhsa_fp16_overflow 0
		.amdhsa_workgroup_processor_mode 1
		.amdhsa_memory_ordered 1
		.amdhsa_forward_progress 0
		.amdhsa_shared_vgpr_count 0
		.amdhsa_exception_fp_ieee_invalid_op 0
		.amdhsa_exception_fp_denorm_src 0
		.amdhsa_exception_fp_ieee_div_zero 0
		.amdhsa_exception_fp_ieee_overflow 0
		.amdhsa_exception_fp_ieee_underflow 0
		.amdhsa_exception_fp_ieee_inexact 0
		.amdhsa_exception_int_div_zero 0
	.end_amdhsa_kernel
	.section	.text._ZN7rocprim17ROCPRIM_400000_NS6detail17trampoline_kernelINS0_14default_configENS1_21merge_config_selectorIiNS0_10empty_typeEEEZNS1_10merge_implIS3_N6thrust23THRUST_200600_302600_NS6detail15normal_iteratorINS9_10device_ptrIKiEEEESF_NSB_INSC_IiEEEEPS5_SI_SI_NS9_4lessIiEEEE10hipError_tPvRmT0_T1_T2_T3_T4_T5_mmT6_P12ihipStream_tbEUlT_E0_NS1_11comp_targetILNS1_3genE2ELNS1_11target_archE906ELNS1_3gpuE6ELNS1_3repE0EEENS1_30default_config_static_selectorELNS0_4arch9wavefront6targetE0EEEvSP_,"axG",@progbits,_ZN7rocprim17ROCPRIM_400000_NS6detail17trampoline_kernelINS0_14default_configENS1_21merge_config_selectorIiNS0_10empty_typeEEEZNS1_10merge_implIS3_N6thrust23THRUST_200600_302600_NS6detail15normal_iteratorINS9_10device_ptrIKiEEEESF_NSB_INSC_IiEEEEPS5_SI_SI_NS9_4lessIiEEEE10hipError_tPvRmT0_T1_T2_T3_T4_T5_mmT6_P12ihipStream_tbEUlT_E0_NS1_11comp_targetILNS1_3genE2ELNS1_11target_archE906ELNS1_3gpuE6ELNS1_3repE0EEENS1_30default_config_static_selectorELNS0_4arch9wavefront6targetE0EEEvSP_,comdat
.Lfunc_end14:
	.size	_ZN7rocprim17ROCPRIM_400000_NS6detail17trampoline_kernelINS0_14default_configENS1_21merge_config_selectorIiNS0_10empty_typeEEEZNS1_10merge_implIS3_N6thrust23THRUST_200600_302600_NS6detail15normal_iteratorINS9_10device_ptrIKiEEEESF_NSB_INSC_IiEEEEPS5_SI_SI_NS9_4lessIiEEEE10hipError_tPvRmT0_T1_T2_T3_T4_T5_mmT6_P12ihipStream_tbEUlT_E0_NS1_11comp_targetILNS1_3genE2ELNS1_11target_archE906ELNS1_3gpuE6ELNS1_3repE0EEENS1_30default_config_static_selectorELNS0_4arch9wavefront6targetE0EEEvSP_, .Lfunc_end14-_ZN7rocprim17ROCPRIM_400000_NS6detail17trampoline_kernelINS0_14default_configENS1_21merge_config_selectorIiNS0_10empty_typeEEEZNS1_10merge_implIS3_N6thrust23THRUST_200600_302600_NS6detail15normal_iteratorINS9_10device_ptrIKiEEEESF_NSB_INSC_IiEEEEPS5_SI_SI_NS9_4lessIiEEEE10hipError_tPvRmT0_T1_T2_T3_T4_T5_mmT6_P12ihipStream_tbEUlT_E0_NS1_11comp_targetILNS1_3genE2ELNS1_11target_archE906ELNS1_3gpuE6ELNS1_3repE0EEENS1_30default_config_static_selectorELNS0_4arch9wavefront6targetE0EEEvSP_
                                        ; -- End function
	.section	.AMDGPU.csdata,"",@progbits
; Kernel info:
; codeLenInByte = 0
; NumSgprs: 0
; NumVgprs: 0
; ScratchSize: 0
; MemoryBound: 0
; FloatMode: 240
; IeeeMode: 1
; LDSByteSize: 0 bytes/workgroup (compile time only)
; SGPRBlocks: 0
; VGPRBlocks: 0
; NumSGPRsForWavesPerEU: 1
; NumVGPRsForWavesPerEU: 1
; Occupancy: 16
; WaveLimiterHint : 0
; COMPUTE_PGM_RSRC2:SCRATCH_EN: 0
; COMPUTE_PGM_RSRC2:USER_SGPR: 15
; COMPUTE_PGM_RSRC2:TRAP_HANDLER: 0
; COMPUTE_PGM_RSRC2:TGID_X_EN: 1
; COMPUTE_PGM_RSRC2:TGID_Y_EN: 0
; COMPUTE_PGM_RSRC2:TGID_Z_EN: 0
; COMPUTE_PGM_RSRC2:TIDIG_COMP_CNT: 0
	.section	.text._ZN7rocprim17ROCPRIM_400000_NS6detail17trampoline_kernelINS0_14default_configENS1_21merge_config_selectorIiNS0_10empty_typeEEEZNS1_10merge_implIS3_N6thrust23THRUST_200600_302600_NS6detail15normal_iteratorINS9_10device_ptrIKiEEEESF_NSB_INSC_IiEEEEPS5_SI_SI_NS9_4lessIiEEEE10hipError_tPvRmT0_T1_T2_T3_T4_T5_mmT6_P12ihipStream_tbEUlT_E0_NS1_11comp_targetILNS1_3genE10ELNS1_11target_archE1201ELNS1_3gpuE5ELNS1_3repE0EEENS1_30default_config_static_selectorELNS0_4arch9wavefront6targetE0EEEvSP_,"axG",@progbits,_ZN7rocprim17ROCPRIM_400000_NS6detail17trampoline_kernelINS0_14default_configENS1_21merge_config_selectorIiNS0_10empty_typeEEEZNS1_10merge_implIS3_N6thrust23THRUST_200600_302600_NS6detail15normal_iteratorINS9_10device_ptrIKiEEEESF_NSB_INSC_IiEEEEPS5_SI_SI_NS9_4lessIiEEEE10hipError_tPvRmT0_T1_T2_T3_T4_T5_mmT6_P12ihipStream_tbEUlT_E0_NS1_11comp_targetILNS1_3genE10ELNS1_11target_archE1201ELNS1_3gpuE5ELNS1_3repE0EEENS1_30default_config_static_selectorELNS0_4arch9wavefront6targetE0EEEvSP_,comdat
	.protected	_ZN7rocprim17ROCPRIM_400000_NS6detail17trampoline_kernelINS0_14default_configENS1_21merge_config_selectorIiNS0_10empty_typeEEEZNS1_10merge_implIS3_N6thrust23THRUST_200600_302600_NS6detail15normal_iteratorINS9_10device_ptrIKiEEEESF_NSB_INSC_IiEEEEPS5_SI_SI_NS9_4lessIiEEEE10hipError_tPvRmT0_T1_T2_T3_T4_T5_mmT6_P12ihipStream_tbEUlT_E0_NS1_11comp_targetILNS1_3genE10ELNS1_11target_archE1201ELNS1_3gpuE5ELNS1_3repE0EEENS1_30default_config_static_selectorELNS0_4arch9wavefront6targetE0EEEvSP_ ; -- Begin function _ZN7rocprim17ROCPRIM_400000_NS6detail17trampoline_kernelINS0_14default_configENS1_21merge_config_selectorIiNS0_10empty_typeEEEZNS1_10merge_implIS3_N6thrust23THRUST_200600_302600_NS6detail15normal_iteratorINS9_10device_ptrIKiEEEESF_NSB_INSC_IiEEEEPS5_SI_SI_NS9_4lessIiEEEE10hipError_tPvRmT0_T1_T2_T3_T4_T5_mmT6_P12ihipStream_tbEUlT_E0_NS1_11comp_targetILNS1_3genE10ELNS1_11target_archE1201ELNS1_3gpuE5ELNS1_3repE0EEENS1_30default_config_static_selectorELNS0_4arch9wavefront6targetE0EEEvSP_
	.globl	_ZN7rocprim17ROCPRIM_400000_NS6detail17trampoline_kernelINS0_14default_configENS1_21merge_config_selectorIiNS0_10empty_typeEEEZNS1_10merge_implIS3_N6thrust23THRUST_200600_302600_NS6detail15normal_iteratorINS9_10device_ptrIKiEEEESF_NSB_INSC_IiEEEEPS5_SI_SI_NS9_4lessIiEEEE10hipError_tPvRmT0_T1_T2_T3_T4_T5_mmT6_P12ihipStream_tbEUlT_E0_NS1_11comp_targetILNS1_3genE10ELNS1_11target_archE1201ELNS1_3gpuE5ELNS1_3repE0EEENS1_30default_config_static_selectorELNS0_4arch9wavefront6targetE0EEEvSP_
	.p2align	8
	.type	_ZN7rocprim17ROCPRIM_400000_NS6detail17trampoline_kernelINS0_14default_configENS1_21merge_config_selectorIiNS0_10empty_typeEEEZNS1_10merge_implIS3_N6thrust23THRUST_200600_302600_NS6detail15normal_iteratorINS9_10device_ptrIKiEEEESF_NSB_INSC_IiEEEEPS5_SI_SI_NS9_4lessIiEEEE10hipError_tPvRmT0_T1_T2_T3_T4_T5_mmT6_P12ihipStream_tbEUlT_E0_NS1_11comp_targetILNS1_3genE10ELNS1_11target_archE1201ELNS1_3gpuE5ELNS1_3repE0EEENS1_30default_config_static_selectorELNS0_4arch9wavefront6targetE0EEEvSP_,@function
_ZN7rocprim17ROCPRIM_400000_NS6detail17trampoline_kernelINS0_14default_configENS1_21merge_config_selectorIiNS0_10empty_typeEEEZNS1_10merge_implIS3_N6thrust23THRUST_200600_302600_NS6detail15normal_iteratorINS9_10device_ptrIKiEEEESF_NSB_INSC_IiEEEEPS5_SI_SI_NS9_4lessIiEEEE10hipError_tPvRmT0_T1_T2_T3_T4_T5_mmT6_P12ihipStream_tbEUlT_E0_NS1_11comp_targetILNS1_3genE10ELNS1_11target_archE1201ELNS1_3gpuE5ELNS1_3repE0EEENS1_30default_config_static_selectorELNS0_4arch9wavefront6targetE0EEEvSP_: ; @_ZN7rocprim17ROCPRIM_400000_NS6detail17trampoline_kernelINS0_14default_configENS1_21merge_config_selectorIiNS0_10empty_typeEEEZNS1_10merge_implIS3_N6thrust23THRUST_200600_302600_NS6detail15normal_iteratorINS9_10device_ptrIKiEEEESF_NSB_INSC_IiEEEEPS5_SI_SI_NS9_4lessIiEEEE10hipError_tPvRmT0_T1_T2_T3_T4_T5_mmT6_P12ihipStream_tbEUlT_E0_NS1_11comp_targetILNS1_3genE10ELNS1_11target_archE1201ELNS1_3gpuE5ELNS1_3repE0EEENS1_30default_config_static_selectorELNS0_4arch9wavefront6targetE0EEEvSP_
; %bb.0:
	.section	.rodata,"a",@progbits
	.p2align	6, 0x0
	.amdhsa_kernel _ZN7rocprim17ROCPRIM_400000_NS6detail17trampoline_kernelINS0_14default_configENS1_21merge_config_selectorIiNS0_10empty_typeEEEZNS1_10merge_implIS3_N6thrust23THRUST_200600_302600_NS6detail15normal_iteratorINS9_10device_ptrIKiEEEESF_NSB_INSC_IiEEEEPS5_SI_SI_NS9_4lessIiEEEE10hipError_tPvRmT0_T1_T2_T3_T4_T5_mmT6_P12ihipStream_tbEUlT_E0_NS1_11comp_targetILNS1_3genE10ELNS1_11target_archE1201ELNS1_3gpuE5ELNS1_3repE0EEENS1_30default_config_static_selectorELNS0_4arch9wavefront6targetE0EEEvSP_
		.amdhsa_group_segment_fixed_size 0
		.amdhsa_private_segment_fixed_size 0
		.amdhsa_kernarg_size 88
		.amdhsa_user_sgpr_count 15
		.amdhsa_user_sgpr_dispatch_ptr 0
		.amdhsa_user_sgpr_queue_ptr 0
		.amdhsa_user_sgpr_kernarg_segment_ptr 1
		.amdhsa_user_sgpr_dispatch_id 0
		.amdhsa_user_sgpr_private_segment_size 0
		.amdhsa_wavefront_size32 1
		.amdhsa_uses_dynamic_stack 0
		.amdhsa_enable_private_segment 0
		.amdhsa_system_sgpr_workgroup_id_x 1
		.amdhsa_system_sgpr_workgroup_id_y 0
		.amdhsa_system_sgpr_workgroup_id_z 0
		.amdhsa_system_sgpr_workgroup_info 0
		.amdhsa_system_vgpr_workitem_id 0
		.amdhsa_next_free_vgpr 1
		.amdhsa_next_free_sgpr 1
		.amdhsa_reserve_vcc 0
		.amdhsa_float_round_mode_32 0
		.amdhsa_float_round_mode_16_64 0
		.amdhsa_float_denorm_mode_32 3
		.amdhsa_float_denorm_mode_16_64 3
		.amdhsa_dx10_clamp 1
		.amdhsa_ieee_mode 1
		.amdhsa_fp16_overflow 0
		.amdhsa_workgroup_processor_mode 1
		.amdhsa_memory_ordered 1
		.amdhsa_forward_progress 0
		.amdhsa_shared_vgpr_count 0
		.amdhsa_exception_fp_ieee_invalid_op 0
		.amdhsa_exception_fp_denorm_src 0
		.amdhsa_exception_fp_ieee_div_zero 0
		.amdhsa_exception_fp_ieee_overflow 0
		.amdhsa_exception_fp_ieee_underflow 0
		.amdhsa_exception_fp_ieee_inexact 0
		.amdhsa_exception_int_div_zero 0
	.end_amdhsa_kernel
	.section	.text._ZN7rocprim17ROCPRIM_400000_NS6detail17trampoline_kernelINS0_14default_configENS1_21merge_config_selectorIiNS0_10empty_typeEEEZNS1_10merge_implIS3_N6thrust23THRUST_200600_302600_NS6detail15normal_iteratorINS9_10device_ptrIKiEEEESF_NSB_INSC_IiEEEEPS5_SI_SI_NS9_4lessIiEEEE10hipError_tPvRmT0_T1_T2_T3_T4_T5_mmT6_P12ihipStream_tbEUlT_E0_NS1_11comp_targetILNS1_3genE10ELNS1_11target_archE1201ELNS1_3gpuE5ELNS1_3repE0EEENS1_30default_config_static_selectorELNS0_4arch9wavefront6targetE0EEEvSP_,"axG",@progbits,_ZN7rocprim17ROCPRIM_400000_NS6detail17trampoline_kernelINS0_14default_configENS1_21merge_config_selectorIiNS0_10empty_typeEEEZNS1_10merge_implIS3_N6thrust23THRUST_200600_302600_NS6detail15normal_iteratorINS9_10device_ptrIKiEEEESF_NSB_INSC_IiEEEEPS5_SI_SI_NS9_4lessIiEEEE10hipError_tPvRmT0_T1_T2_T3_T4_T5_mmT6_P12ihipStream_tbEUlT_E0_NS1_11comp_targetILNS1_3genE10ELNS1_11target_archE1201ELNS1_3gpuE5ELNS1_3repE0EEENS1_30default_config_static_selectorELNS0_4arch9wavefront6targetE0EEEvSP_,comdat
.Lfunc_end15:
	.size	_ZN7rocprim17ROCPRIM_400000_NS6detail17trampoline_kernelINS0_14default_configENS1_21merge_config_selectorIiNS0_10empty_typeEEEZNS1_10merge_implIS3_N6thrust23THRUST_200600_302600_NS6detail15normal_iteratorINS9_10device_ptrIKiEEEESF_NSB_INSC_IiEEEEPS5_SI_SI_NS9_4lessIiEEEE10hipError_tPvRmT0_T1_T2_T3_T4_T5_mmT6_P12ihipStream_tbEUlT_E0_NS1_11comp_targetILNS1_3genE10ELNS1_11target_archE1201ELNS1_3gpuE5ELNS1_3repE0EEENS1_30default_config_static_selectorELNS0_4arch9wavefront6targetE0EEEvSP_, .Lfunc_end15-_ZN7rocprim17ROCPRIM_400000_NS6detail17trampoline_kernelINS0_14default_configENS1_21merge_config_selectorIiNS0_10empty_typeEEEZNS1_10merge_implIS3_N6thrust23THRUST_200600_302600_NS6detail15normal_iteratorINS9_10device_ptrIKiEEEESF_NSB_INSC_IiEEEEPS5_SI_SI_NS9_4lessIiEEEE10hipError_tPvRmT0_T1_T2_T3_T4_T5_mmT6_P12ihipStream_tbEUlT_E0_NS1_11comp_targetILNS1_3genE10ELNS1_11target_archE1201ELNS1_3gpuE5ELNS1_3repE0EEENS1_30default_config_static_selectorELNS0_4arch9wavefront6targetE0EEEvSP_
                                        ; -- End function
	.section	.AMDGPU.csdata,"",@progbits
; Kernel info:
; codeLenInByte = 0
; NumSgprs: 0
; NumVgprs: 0
; ScratchSize: 0
; MemoryBound: 0
; FloatMode: 240
; IeeeMode: 1
; LDSByteSize: 0 bytes/workgroup (compile time only)
; SGPRBlocks: 0
; VGPRBlocks: 0
; NumSGPRsForWavesPerEU: 1
; NumVGPRsForWavesPerEU: 1
; Occupancy: 16
; WaveLimiterHint : 0
; COMPUTE_PGM_RSRC2:SCRATCH_EN: 0
; COMPUTE_PGM_RSRC2:USER_SGPR: 15
; COMPUTE_PGM_RSRC2:TRAP_HANDLER: 0
; COMPUTE_PGM_RSRC2:TGID_X_EN: 1
; COMPUTE_PGM_RSRC2:TGID_Y_EN: 0
; COMPUTE_PGM_RSRC2:TGID_Z_EN: 0
; COMPUTE_PGM_RSRC2:TIDIG_COMP_CNT: 0
	.section	.text._ZN7rocprim17ROCPRIM_400000_NS6detail17trampoline_kernelINS0_14default_configENS1_21merge_config_selectorIiNS0_10empty_typeEEEZNS1_10merge_implIS3_N6thrust23THRUST_200600_302600_NS6detail15normal_iteratorINS9_10device_ptrIKiEEEESF_NSB_INSC_IiEEEEPS5_SI_SI_NS9_4lessIiEEEE10hipError_tPvRmT0_T1_T2_T3_T4_T5_mmT6_P12ihipStream_tbEUlT_E0_NS1_11comp_targetILNS1_3genE10ELNS1_11target_archE1200ELNS1_3gpuE4ELNS1_3repE0EEENS1_30default_config_static_selectorELNS0_4arch9wavefront6targetE0EEEvSP_,"axG",@progbits,_ZN7rocprim17ROCPRIM_400000_NS6detail17trampoline_kernelINS0_14default_configENS1_21merge_config_selectorIiNS0_10empty_typeEEEZNS1_10merge_implIS3_N6thrust23THRUST_200600_302600_NS6detail15normal_iteratorINS9_10device_ptrIKiEEEESF_NSB_INSC_IiEEEEPS5_SI_SI_NS9_4lessIiEEEE10hipError_tPvRmT0_T1_T2_T3_T4_T5_mmT6_P12ihipStream_tbEUlT_E0_NS1_11comp_targetILNS1_3genE10ELNS1_11target_archE1200ELNS1_3gpuE4ELNS1_3repE0EEENS1_30default_config_static_selectorELNS0_4arch9wavefront6targetE0EEEvSP_,comdat
	.protected	_ZN7rocprim17ROCPRIM_400000_NS6detail17trampoline_kernelINS0_14default_configENS1_21merge_config_selectorIiNS0_10empty_typeEEEZNS1_10merge_implIS3_N6thrust23THRUST_200600_302600_NS6detail15normal_iteratorINS9_10device_ptrIKiEEEESF_NSB_INSC_IiEEEEPS5_SI_SI_NS9_4lessIiEEEE10hipError_tPvRmT0_T1_T2_T3_T4_T5_mmT6_P12ihipStream_tbEUlT_E0_NS1_11comp_targetILNS1_3genE10ELNS1_11target_archE1200ELNS1_3gpuE4ELNS1_3repE0EEENS1_30default_config_static_selectorELNS0_4arch9wavefront6targetE0EEEvSP_ ; -- Begin function _ZN7rocprim17ROCPRIM_400000_NS6detail17trampoline_kernelINS0_14default_configENS1_21merge_config_selectorIiNS0_10empty_typeEEEZNS1_10merge_implIS3_N6thrust23THRUST_200600_302600_NS6detail15normal_iteratorINS9_10device_ptrIKiEEEESF_NSB_INSC_IiEEEEPS5_SI_SI_NS9_4lessIiEEEE10hipError_tPvRmT0_T1_T2_T3_T4_T5_mmT6_P12ihipStream_tbEUlT_E0_NS1_11comp_targetILNS1_3genE10ELNS1_11target_archE1200ELNS1_3gpuE4ELNS1_3repE0EEENS1_30default_config_static_selectorELNS0_4arch9wavefront6targetE0EEEvSP_
	.globl	_ZN7rocprim17ROCPRIM_400000_NS6detail17trampoline_kernelINS0_14default_configENS1_21merge_config_selectorIiNS0_10empty_typeEEEZNS1_10merge_implIS3_N6thrust23THRUST_200600_302600_NS6detail15normal_iteratorINS9_10device_ptrIKiEEEESF_NSB_INSC_IiEEEEPS5_SI_SI_NS9_4lessIiEEEE10hipError_tPvRmT0_T1_T2_T3_T4_T5_mmT6_P12ihipStream_tbEUlT_E0_NS1_11comp_targetILNS1_3genE10ELNS1_11target_archE1200ELNS1_3gpuE4ELNS1_3repE0EEENS1_30default_config_static_selectorELNS0_4arch9wavefront6targetE0EEEvSP_
	.p2align	8
	.type	_ZN7rocprim17ROCPRIM_400000_NS6detail17trampoline_kernelINS0_14default_configENS1_21merge_config_selectorIiNS0_10empty_typeEEEZNS1_10merge_implIS3_N6thrust23THRUST_200600_302600_NS6detail15normal_iteratorINS9_10device_ptrIKiEEEESF_NSB_INSC_IiEEEEPS5_SI_SI_NS9_4lessIiEEEE10hipError_tPvRmT0_T1_T2_T3_T4_T5_mmT6_P12ihipStream_tbEUlT_E0_NS1_11comp_targetILNS1_3genE10ELNS1_11target_archE1200ELNS1_3gpuE4ELNS1_3repE0EEENS1_30default_config_static_selectorELNS0_4arch9wavefront6targetE0EEEvSP_,@function
_ZN7rocprim17ROCPRIM_400000_NS6detail17trampoline_kernelINS0_14default_configENS1_21merge_config_selectorIiNS0_10empty_typeEEEZNS1_10merge_implIS3_N6thrust23THRUST_200600_302600_NS6detail15normal_iteratorINS9_10device_ptrIKiEEEESF_NSB_INSC_IiEEEEPS5_SI_SI_NS9_4lessIiEEEE10hipError_tPvRmT0_T1_T2_T3_T4_T5_mmT6_P12ihipStream_tbEUlT_E0_NS1_11comp_targetILNS1_3genE10ELNS1_11target_archE1200ELNS1_3gpuE4ELNS1_3repE0EEENS1_30default_config_static_selectorELNS0_4arch9wavefront6targetE0EEEvSP_: ; @_ZN7rocprim17ROCPRIM_400000_NS6detail17trampoline_kernelINS0_14default_configENS1_21merge_config_selectorIiNS0_10empty_typeEEEZNS1_10merge_implIS3_N6thrust23THRUST_200600_302600_NS6detail15normal_iteratorINS9_10device_ptrIKiEEEESF_NSB_INSC_IiEEEEPS5_SI_SI_NS9_4lessIiEEEE10hipError_tPvRmT0_T1_T2_T3_T4_T5_mmT6_P12ihipStream_tbEUlT_E0_NS1_11comp_targetILNS1_3genE10ELNS1_11target_archE1200ELNS1_3gpuE4ELNS1_3repE0EEENS1_30default_config_static_selectorELNS0_4arch9wavefront6targetE0EEEvSP_
; %bb.0:
	.section	.rodata,"a",@progbits
	.p2align	6, 0x0
	.amdhsa_kernel _ZN7rocprim17ROCPRIM_400000_NS6detail17trampoline_kernelINS0_14default_configENS1_21merge_config_selectorIiNS0_10empty_typeEEEZNS1_10merge_implIS3_N6thrust23THRUST_200600_302600_NS6detail15normal_iteratorINS9_10device_ptrIKiEEEESF_NSB_INSC_IiEEEEPS5_SI_SI_NS9_4lessIiEEEE10hipError_tPvRmT0_T1_T2_T3_T4_T5_mmT6_P12ihipStream_tbEUlT_E0_NS1_11comp_targetILNS1_3genE10ELNS1_11target_archE1200ELNS1_3gpuE4ELNS1_3repE0EEENS1_30default_config_static_selectorELNS0_4arch9wavefront6targetE0EEEvSP_
		.amdhsa_group_segment_fixed_size 0
		.amdhsa_private_segment_fixed_size 0
		.amdhsa_kernarg_size 88
		.amdhsa_user_sgpr_count 15
		.amdhsa_user_sgpr_dispatch_ptr 0
		.amdhsa_user_sgpr_queue_ptr 0
		.amdhsa_user_sgpr_kernarg_segment_ptr 1
		.amdhsa_user_sgpr_dispatch_id 0
		.amdhsa_user_sgpr_private_segment_size 0
		.amdhsa_wavefront_size32 1
		.amdhsa_uses_dynamic_stack 0
		.amdhsa_enable_private_segment 0
		.amdhsa_system_sgpr_workgroup_id_x 1
		.amdhsa_system_sgpr_workgroup_id_y 0
		.amdhsa_system_sgpr_workgroup_id_z 0
		.amdhsa_system_sgpr_workgroup_info 0
		.amdhsa_system_vgpr_workitem_id 0
		.amdhsa_next_free_vgpr 1
		.amdhsa_next_free_sgpr 1
		.amdhsa_reserve_vcc 0
		.amdhsa_float_round_mode_32 0
		.amdhsa_float_round_mode_16_64 0
		.amdhsa_float_denorm_mode_32 3
		.amdhsa_float_denorm_mode_16_64 3
		.amdhsa_dx10_clamp 1
		.amdhsa_ieee_mode 1
		.amdhsa_fp16_overflow 0
		.amdhsa_workgroup_processor_mode 1
		.amdhsa_memory_ordered 1
		.amdhsa_forward_progress 0
		.amdhsa_shared_vgpr_count 0
		.amdhsa_exception_fp_ieee_invalid_op 0
		.amdhsa_exception_fp_denorm_src 0
		.amdhsa_exception_fp_ieee_div_zero 0
		.amdhsa_exception_fp_ieee_overflow 0
		.amdhsa_exception_fp_ieee_underflow 0
		.amdhsa_exception_fp_ieee_inexact 0
		.amdhsa_exception_int_div_zero 0
	.end_amdhsa_kernel
	.section	.text._ZN7rocprim17ROCPRIM_400000_NS6detail17trampoline_kernelINS0_14default_configENS1_21merge_config_selectorIiNS0_10empty_typeEEEZNS1_10merge_implIS3_N6thrust23THRUST_200600_302600_NS6detail15normal_iteratorINS9_10device_ptrIKiEEEESF_NSB_INSC_IiEEEEPS5_SI_SI_NS9_4lessIiEEEE10hipError_tPvRmT0_T1_T2_T3_T4_T5_mmT6_P12ihipStream_tbEUlT_E0_NS1_11comp_targetILNS1_3genE10ELNS1_11target_archE1200ELNS1_3gpuE4ELNS1_3repE0EEENS1_30default_config_static_selectorELNS0_4arch9wavefront6targetE0EEEvSP_,"axG",@progbits,_ZN7rocprim17ROCPRIM_400000_NS6detail17trampoline_kernelINS0_14default_configENS1_21merge_config_selectorIiNS0_10empty_typeEEEZNS1_10merge_implIS3_N6thrust23THRUST_200600_302600_NS6detail15normal_iteratorINS9_10device_ptrIKiEEEESF_NSB_INSC_IiEEEEPS5_SI_SI_NS9_4lessIiEEEE10hipError_tPvRmT0_T1_T2_T3_T4_T5_mmT6_P12ihipStream_tbEUlT_E0_NS1_11comp_targetILNS1_3genE10ELNS1_11target_archE1200ELNS1_3gpuE4ELNS1_3repE0EEENS1_30default_config_static_selectorELNS0_4arch9wavefront6targetE0EEEvSP_,comdat
.Lfunc_end16:
	.size	_ZN7rocprim17ROCPRIM_400000_NS6detail17trampoline_kernelINS0_14default_configENS1_21merge_config_selectorIiNS0_10empty_typeEEEZNS1_10merge_implIS3_N6thrust23THRUST_200600_302600_NS6detail15normal_iteratorINS9_10device_ptrIKiEEEESF_NSB_INSC_IiEEEEPS5_SI_SI_NS9_4lessIiEEEE10hipError_tPvRmT0_T1_T2_T3_T4_T5_mmT6_P12ihipStream_tbEUlT_E0_NS1_11comp_targetILNS1_3genE10ELNS1_11target_archE1200ELNS1_3gpuE4ELNS1_3repE0EEENS1_30default_config_static_selectorELNS0_4arch9wavefront6targetE0EEEvSP_, .Lfunc_end16-_ZN7rocprim17ROCPRIM_400000_NS6detail17trampoline_kernelINS0_14default_configENS1_21merge_config_selectorIiNS0_10empty_typeEEEZNS1_10merge_implIS3_N6thrust23THRUST_200600_302600_NS6detail15normal_iteratorINS9_10device_ptrIKiEEEESF_NSB_INSC_IiEEEEPS5_SI_SI_NS9_4lessIiEEEE10hipError_tPvRmT0_T1_T2_T3_T4_T5_mmT6_P12ihipStream_tbEUlT_E0_NS1_11comp_targetILNS1_3genE10ELNS1_11target_archE1200ELNS1_3gpuE4ELNS1_3repE0EEENS1_30default_config_static_selectorELNS0_4arch9wavefront6targetE0EEEvSP_
                                        ; -- End function
	.section	.AMDGPU.csdata,"",@progbits
; Kernel info:
; codeLenInByte = 0
; NumSgprs: 0
; NumVgprs: 0
; ScratchSize: 0
; MemoryBound: 0
; FloatMode: 240
; IeeeMode: 1
; LDSByteSize: 0 bytes/workgroup (compile time only)
; SGPRBlocks: 0
; VGPRBlocks: 0
; NumSGPRsForWavesPerEU: 1
; NumVGPRsForWavesPerEU: 1
; Occupancy: 16
; WaveLimiterHint : 0
; COMPUTE_PGM_RSRC2:SCRATCH_EN: 0
; COMPUTE_PGM_RSRC2:USER_SGPR: 15
; COMPUTE_PGM_RSRC2:TRAP_HANDLER: 0
; COMPUTE_PGM_RSRC2:TGID_X_EN: 1
; COMPUTE_PGM_RSRC2:TGID_Y_EN: 0
; COMPUTE_PGM_RSRC2:TGID_Z_EN: 0
; COMPUTE_PGM_RSRC2:TIDIG_COMP_CNT: 0
	.section	.text._ZN7rocprim17ROCPRIM_400000_NS6detail17trampoline_kernelINS0_14default_configENS1_21merge_config_selectorIiNS0_10empty_typeEEEZNS1_10merge_implIS3_N6thrust23THRUST_200600_302600_NS6detail15normal_iteratorINS9_10device_ptrIKiEEEESF_NSB_INSC_IiEEEEPS5_SI_SI_NS9_4lessIiEEEE10hipError_tPvRmT0_T1_T2_T3_T4_T5_mmT6_P12ihipStream_tbEUlT_E0_NS1_11comp_targetILNS1_3genE9ELNS1_11target_archE1100ELNS1_3gpuE3ELNS1_3repE0EEENS1_30default_config_static_selectorELNS0_4arch9wavefront6targetE0EEEvSP_,"axG",@progbits,_ZN7rocprim17ROCPRIM_400000_NS6detail17trampoline_kernelINS0_14default_configENS1_21merge_config_selectorIiNS0_10empty_typeEEEZNS1_10merge_implIS3_N6thrust23THRUST_200600_302600_NS6detail15normal_iteratorINS9_10device_ptrIKiEEEESF_NSB_INSC_IiEEEEPS5_SI_SI_NS9_4lessIiEEEE10hipError_tPvRmT0_T1_T2_T3_T4_T5_mmT6_P12ihipStream_tbEUlT_E0_NS1_11comp_targetILNS1_3genE9ELNS1_11target_archE1100ELNS1_3gpuE3ELNS1_3repE0EEENS1_30default_config_static_selectorELNS0_4arch9wavefront6targetE0EEEvSP_,comdat
	.protected	_ZN7rocprim17ROCPRIM_400000_NS6detail17trampoline_kernelINS0_14default_configENS1_21merge_config_selectorIiNS0_10empty_typeEEEZNS1_10merge_implIS3_N6thrust23THRUST_200600_302600_NS6detail15normal_iteratorINS9_10device_ptrIKiEEEESF_NSB_INSC_IiEEEEPS5_SI_SI_NS9_4lessIiEEEE10hipError_tPvRmT0_T1_T2_T3_T4_T5_mmT6_P12ihipStream_tbEUlT_E0_NS1_11comp_targetILNS1_3genE9ELNS1_11target_archE1100ELNS1_3gpuE3ELNS1_3repE0EEENS1_30default_config_static_selectorELNS0_4arch9wavefront6targetE0EEEvSP_ ; -- Begin function _ZN7rocprim17ROCPRIM_400000_NS6detail17trampoline_kernelINS0_14default_configENS1_21merge_config_selectorIiNS0_10empty_typeEEEZNS1_10merge_implIS3_N6thrust23THRUST_200600_302600_NS6detail15normal_iteratorINS9_10device_ptrIKiEEEESF_NSB_INSC_IiEEEEPS5_SI_SI_NS9_4lessIiEEEE10hipError_tPvRmT0_T1_T2_T3_T4_T5_mmT6_P12ihipStream_tbEUlT_E0_NS1_11comp_targetILNS1_3genE9ELNS1_11target_archE1100ELNS1_3gpuE3ELNS1_3repE0EEENS1_30default_config_static_selectorELNS0_4arch9wavefront6targetE0EEEvSP_
	.globl	_ZN7rocprim17ROCPRIM_400000_NS6detail17trampoline_kernelINS0_14default_configENS1_21merge_config_selectorIiNS0_10empty_typeEEEZNS1_10merge_implIS3_N6thrust23THRUST_200600_302600_NS6detail15normal_iteratorINS9_10device_ptrIKiEEEESF_NSB_INSC_IiEEEEPS5_SI_SI_NS9_4lessIiEEEE10hipError_tPvRmT0_T1_T2_T3_T4_T5_mmT6_P12ihipStream_tbEUlT_E0_NS1_11comp_targetILNS1_3genE9ELNS1_11target_archE1100ELNS1_3gpuE3ELNS1_3repE0EEENS1_30default_config_static_selectorELNS0_4arch9wavefront6targetE0EEEvSP_
	.p2align	8
	.type	_ZN7rocprim17ROCPRIM_400000_NS6detail17trampoline_kernelINS0_14default_configENS1_21merge_config_selectorIiNS0_10empty_typeEEEZNS1_10merge_implIS3_N6thrust23THRUST_200600_302600_NS6detail15normal_iteratorINS9_10device_ptrIKiEEEESF_NSB_INSC_IiEEEEPS5_SI_SI_NS9_4lessIiEEEE10hipError_tPvRmT0_T1_T2_T3_T4_T5_mmT6_P12ihipStream_tbEUlT_E0_NS1_11comp_targetILNS1_3genE9ELNS1_11target_archE1100ELNS1_3gpuE3ELNS1_3repE0EEENS1_30default_config_static_selectorELNS0_4arch9wavefront6targetE0EEEvSP_,@function
_ZN7rocprim17ROCPRIM_400000_NS6detail17trampoline_kernelINS0_14default_configENS1_21merge_config_selectorIiNS0_10empty_typeEEEZNS1_10merge_implIS3_N6thrust23THRUST_200600_302600_NS6detail15normal_iteratorINS9_10device_ptrIKiEEEESF_NSB_INSC_IiEEEEPS5_SI_SI_NS9_4lessIiEEEE10hipError_tPvRmT0_T1_T2_T3_T4_T5_mmT6_P12ihipStream_tbEUlT_E0_NS1_11comp_targetILNS1_3genE9ELNS1_11target_archE1100ELNS1_3gpuE3ELNS1_3repE0EEENS1_30default_config_static_selectorELNS0_4arch9wavefront6targetE0EEEvSP_: ; @_ZN7rocprim17ROCPRIM_400000_NS6detail17trampoline_kernelINS0_14default_configENS1_21merge_config_selectorIiNS0_10empty_typeEEEZNS1_10merge_implIS3_N6thrust23THRUST_200600_302600_NS6detail15normal_iteratorINS9_10device_ptrIKiEEEESF_NSB_INSC_IiEEEEPS5_SI_SI_NS9_4lessIiEEEE10hipError_tPvRmT0_T1_T2_T3_T4_T5_mmT6_P12ihipStream_tbEUlT_E0_NS1_11comp_targetILNS1_3genE9ELNS1_11target_archE1100ELNS1_3gpuE3ELNS1_3repE0EEENS1_30default_config_static_selectorELNS0_4arch9wavefront6targetE0EEEvSP_
; %bb.0:
	s_clause 0x1
	s_load_b128 s[16:19], s[0:1], 0x40
	s_load_b256 s[4:11], s[0:1], 0x8
	s_lshl_b32 s12, s15, 13
	s_mov_b32 s3, 0
	v_mov_b32_e32 v1, 0
	s_waitcnt lgkmcnt(0)
	s_add_i32 s14, s18, s16
	s_delay_alu instid0(SALU_CYCLE_1) | instskip(NEXT) | instid1(SALU_CYCLE_1)
	s_add_i32 s0, s14, 0x1fff
	s_lshr_b32 s0, s0, 13
	s_delay_alu instid0(SALU_CYCLE_1) | instskip(NEXT) | instid1(SALU_CYCLE_1)
	s_min_u32 s1, s15, s0
	s_lshl_b32 s1, s1, 2
	s_load_b32 s2, s[4:5], s1 offset:0x0
	s_add_i32 s1, s15, 1
	s_delay_alu instid0(SALU_CYCLE_1) | instskip(NEXT) | instid1(SALU_CYCLE_1)
	s_min_u32 s0, s1, s0
	s_lshl_b32 s0, s0, 2
	s_load_b32 s13, s[4:5], s0 offset:0x0
	s_add_i32 s0, s12, 0x2000
	s_mov_b32 s5, s3
	s_min_u32 s15, s14, s0
	s_waitcnt lgkmcnt(0)
	s_lshl_b64 s[0:1], s[2:3], 2
	s_sub_i32 s4, s12, s2
	s_add_u32 s0, s6, s0
	s_addc_u32 s1, s7, s1
	s_lshl_b64 s[6:7], s[4:5], 2
	s_delay_alu instid0(SALU_CYCLE_1)
	s_add_u32 s5, s8, s6
	s_addc_u32 s6, s9, s7
	s_add_i32 s3, s4, s13
	s_sub_i32 s8, s13, s2
	s_sub_i32 s4, s15, s3
	s_mov_b32 s7, exec_lo
	s_add_u32 s2, s4, s8
	s_addc_u32 s3, 0, 0
	v_cmpx_le_u32_e64 s8, v0
	s_xor_b32 s7, exec_lo, s7
	s_cbranch_execz .LBB17_4
; %bb.1:
	s_mov_b32 s9, exec_lo
	v_cmpx_gt_u64_e64 s[2:3], v[0:1]
	s_cbranch_execz .LBB17_3
; %bb.2:
	v_sub_co_u32 v1, s13, v0, s8
	s_delay_alu instid0(VALU_DEP_1) | instskip(NEXT) | instid1(VALU_DEP_1)
	v_sub_co_ci_u32_e64 v2, null, 0, 0, s13
	v_lshlrev_b64 v[1:2], 2, v[1:2]
	s_delay_alu instid0(VALU_DEP_1) | instskip(NEXT) | instid1(VALU_DEP_2)
	v_add_co_u32 v1, vcc_lo, s5, v1
	v_add_co_ci_u32_e32 v2, vcc_lo, s6, v2, vcc_lo
	global_load_b32 v1, v[1:2], off
	v_lshlrev_b32_e32 v2, 2, v0
	s_waitcnt vmcnt(0)
	ds_store_b32 v2, v1
.LBB17_3:
	s_or_b32 exec_lo, exec_lo, s9
.LBB17_4:
	s_or_saveexec_b32 s7, s7
	v_lshlrev_b32_e32 v10, 2, v0
	s_xor_b32 exec_lo, exec_lo, s7
	s_cbranch_execz .LBB17_6
; %bb.5:
	global_load_b32 v1, v10, s[0:1]
	s_waitcnt vmcnt(0)
	ds_store_b32 v10, v1
.LBB17_6:
	s_or_b32 exec_lo, exec_lo, s7
	v_or_b32_e32 v1, 0x400, v0
	v_mov_b32_e32 v2, 0
	s_mov_b32 s7, exec_lo
	s_delay_alu instid0(VALU_DEP_2)
	v_cmpx_le_u32_e64 s8, v1
	s_xor_b32 s7, exec_lo, s7
	s_cbranch_execz .LBB17_10
; %bb.7:
	s_mov_b32 s9, exec_lo
	v_cmpx_gt_u64_e64 s[2:3], v[1:2]
	s_cbranch_execz .LBB17_9
; %bb.8:
	v_sub_co_u32 v2, s13, v1, s8
	s_delay_alu instid0(VALU_DEP_1) | instskip(NEXT) | instid1(VALU_DEP_1)
	v_sub_co_ci_u32_e64 v3, null, 0, 0, s13
	v_lshlrev_b64 v[2:3], 2, v[2:3]
	s_delay_alu instid0(VALU_DEP_1) | instskip(NEXT) | instid1(VALU_DEP_2)
	v_add_co_u32 v2, vcc_lo, s5, v2
	v_add_co_ci_u32_e32 v3, vcc_lo, s6, v3, vcc_lo
	global_load_b32 v2, v[2:3], off
	s_waitcnt vmcnt(0)
	ds_store_b32 v10, v2 offset:4096
.LBB17_9:
	s_or_b32 exec_lo, exec_lo, s9
.LBB17_10:
	s_and_not1_saveexec_b32 s7, s7
	s_cbranch_execz .LBB17_12
; %bb.11:
	v_lshlrev_b32_e32 v2, 2, v1
	global_load_b32 v2, v2, s[0:1]
	s_waitcnt vmcnt(0)
	ds_store_b32 v10, v2 offset:4096
.LBB17_12:
	s_or_b32 exec_lo, exec_lo, s7
	v_or_b32_e32 v2, 0x800, v0
	v_mov_b32_e32 v3, 0
	s_mov_b32 s7, exec_lo
	s_delay_alu instid0(VALU_DEP_2)
	v_cmpx_le_u32_e64 s8, v2
	s_xor_b32 s7, exec_lo, s7
	s_cbranch_execz .LBB17_16
; %bb.13:
	s_mov_b32 s9, exec_lo
	v_cmpx_gt_u64_e64 s[2:3], v[2:3]
	s_cbranch_execz .LBB17_15
; %bb.14:
	v_sub_co_u32 v3, s13, v2, s8
	s_delay_alu instid0(VALU_DEP_1) | instskip(NEXT) | instid1(VALU_DEP_1)
	v_sub_co_ci_u32_e64 v4, null, 0, 0, s13
	v_lshlrev_b64 v[3:4], 2, v[3:4]
	s_delay_alu instid0(VALU_DEP_1) | instskip(NEXT) | instid1(VALU_DEP_2)
	v_add_co_u32 v3, vcc_lo, s5, v3
	v_add_co_ci_u32_e32 v4, vcc_lo, s6, v4, vcc_lo
	global_load_b32 v3, v[3:4], off
	s_waitcnt vmcnt(0)
	ds_store_b32 v10, v3 offset:8192
.LBB17_15:
	s_or_b32 exec_lo, exec_lo, s9
.LBB17_16:
	s_and_not1_saveexec_b32 s7, s7
	s_cbranch_execz .LBB17_18
; %bb.17:
	v_lshlrev_b32_e32 v3, 2, v2
	global_load_b32 v3, v3, s[0:1]
	s_waitcnt vmcnt(0)
	ds_store_b32 v10, v3 offset:8192
.LBB17_18:
	;; [unrolled: 34-line block ×6, first 2 shown]
	s_or_b32 exec_lo, exec_lo, s7
	v_or_b32_e32 v7, 0x1c00, v0
	v_mov_b32_e32 v8, 0
	s_mov_b32 s7, exec_lo
	s_delay_alu instid0(VALU_DEP_2)
	v_cmpx_le_u32_e64 s8, v7
	s_xor_b32 s7, exec_lo, s7
	s_cbranch_execz .LBB17_46
; %bb.43:
	v_cmp_gt_u64_e32 vcc_lo, s[2:3], v[7:8]
	s_and_saveexec_b32 s2, vcc_lo
	s_cbranch_execz .LBB17_45
; %bb.44:
	v_sub_co_u32 v8, s3, v7, s8
	s_delay_alu instid0(VALU_DEP_1) | instskip(NEXT) | instid1(VALU_DEP_1)
	v_sub_co_ci_u32_e64 v9, null, 0, 0, s3
	v_lshlrev_b64 v[8:9], 2, v[8:9]
	s_delay_alu instid0(VALU_DEP_1) | instskip(NEXT) | instid1(VALU_DEP_2)
	v_add_co_u32 v8, vcc_lo, s5, v8
	v_add_co_ci_u32_e32 v9, vcc_lo, s6, v9, vcc_lo
	global_load_b32 v8, v[8:9], off
	s_waitcnt vmcnt(0)
	ds_store_b32 v10, v8 offset:28672
.LBB17_45:
	s_or_b32 exec_lo, exec_lo, s2
.LBB17_46:
	s_and_not1_saveexec_b32 s2, s7
	s_cbranch_execz .LBB17_48
; %bb.47:
	v_lshlrev_b32_e32 v8, 2, v7
	global_load_b32 v8, v8, s[0:1]
	s_waitcnt vmcnt(0)
	ds_store_b32 v10, v8 offset:28672
.LBB17_48:
	s_or_b32 exec_lo, exec_lo, s2
	v_lshlrev_b32_e32 v8, 3, v0
	s_mov_b32 s0, exec_lo
	s_waitcnt lgkmcnt(0)
	s_barrier
	buffer_gl0_inv
	v_sub_nc_u32_e64 v11, v8, s4 clamp
	v_min_u32_e32 v9, s8, v8
	s_delay_alu instid0(VALU_DEP_1)
	v_cmpx_lt_u32_e64 v11, v9
	s_cbranch_execz .LBB17_52
; %bb.49:
	v_lshlrev_b32_e32 v12, 2, v8
	s_mov_b32 s1, 0
	s_delay_alu instid0(VALU_DEP_1)
	v_lshl_add_u32 v12, s8, 2, v12
	.p2align	6
.LBB17_50:                              ; =>This Inner Loop Header: Depth=1
	v_add_nc_u32_e32 v13, v9, v11
	s_delay_alu instid0(VALU_DEP_1) | instskip(NEXT) | instid1(VALU_DEP_1)
	v_lshrrev_b32_e32 v13, 1, v13
	v_not_b32_e32 v14, v13
	v_lshlrev_b32_e32 v15, 2, v13
	v_add_nc_u32_e32 v16, 1, v13
	s_delay_alu instid0(VALU_DEP_3)
	v_lshl_add_u32 v14, v14, 2, v12
	ds_load_b32 v15, v15
	ds_load_b32 v14, v14
	s_waitcnt lgkmcnt(0)
	v_cmp_lt_i32_e32 vcc_lo, v14, v15
	v_cndmask_b32_e32 v9, v9, v13, vcc_lo
	v_cndmask_b32_e32 v11, v16, v11, vcc_lo
	s_delay_alu instid0(VALU_DEP_1) | instskip(SKIP_1) | instid1(SALU_CYCLE_1)
	v_cmp_ge_u32_e32 vcc_lo, v11, v9
	s_or_b32 s1, vcc_lo, s1
	s_and_not1_b32 exec_lo, exec_lo, s1
	s_cbranch_execnz .LBB17_50
; %bb.51:
	s_or_b32 exec_lo, exec_lo, s1
.LBB17_52:
	s_delay_alu instid0(SALU_CYCLE_1) | instskip(SKIP_3) | instid1(VALU_DEP_2)
	s_or_b32 exec_lo, exec_lo, s0
	v_add_nc_u32_e32 v8, s8, v8
	s_add_i32 s13, s4, s8
	v_cmp_ge_u32_e32 vcc_lo, s8, v11
                                        ; implicit-def: $vgpr24
                                        ; implicit-def: $vgpr20
                                        ; implicit-def: $vgpr21
                                        ; implicit-def: $vgpr22
                                        ; implicit-def: $vgpr23
                                        ; implicit-def: $vgpr18
                                        ; implicit-def: $vgpr19
                                        ; implicit-def: $vgpr17
	v_sub_nc_u32_e32 v12, v8, v11
	s_delay_alu instid0(VALU_DEP_1) | instskip(NEXT) | instid1(VALU_DEP_1)
	v_cmp_ge_u32_e64 s0, s13, v12
	s_or_b32 s0, vcc_lo, s0
	s_delay_alu instid0(SALU_CYCLE_1)
	s_and_saveexec_b32 s9, s0
	s_cbranch_execz .LBB17_58
; %bb.53:
	v_cmp_gt_u32_e32 vcc_lo, s8, v11
                                        ; implicit-def: $vgpr8
	s_and_saveexec_b32 s0, vcc_lo
	s_cbranch_execz .LBB17_55
; %bb.54:
	v_lshlrev_b32_e32 v8, 2, v11
	ds_load_b32 v8, v8
.LBB17_55:
	s_or_b32 exec_lo, exec_lo, s0
	v_cmp_le_u32_e64 s0, s13, v12
	s_mov_b32 s2, exec_lo
                                        ; implicit-def: $vgpr9
	v_cmpx_gt_u32_e64 s13, v12
	s_cbranch_execz .LBB17_57
; %bb.56:
	v_lshlrev_b32_e32 v9, 2, v12
	ds_load_b32 v9, v9
.LBB17_57:
	s_or_b32 exec_lo, exec_lo, s2
	s_waitcnt lgkmcnt(0)
	v_cmp_ge_i32_e64 s1, v9, v8
	s_delay_alu instid0(VALU_DEP_1) | instskip(NEXT) | instid1(SALU_CYCLE_1)
	s_and_b32 s1, vcc_lo, s1
	s_or_b32 vcc_lo, s0, s1
	v_dual_mov_b32 v13, s8 :: v_dual_cndmask_b32 v14, v12, v11
	s_delay_alu instid0(VALU_DEP_1) | instskip(NEXT) | instid1(VALU_DEP_1)
	v_dual_cndmask_b32 v15, s13, v13 :: v_dual_add_nc_u32 v14, 1, v14
	v_dual_cndmask_b32 v12, v14, v12 :: v_dual_add_nc_u32 v15, -1, v15
	v_cndmask_b32_e32 v11, v11, v14, vcc_lo
	s_delay_alu instid0(VALU_DEP_2) | instskip(NEXT) | instid1(VALU_DEP_3)
	v_min_u32_e32 v15, v14, v15
	v_cmp_le_u32_e64 s2, s13, v12
	s_delay_alu instid0(VALU_DEP_3) | instskip(NEXT) | instid1(VALU_DEP_3)
	v_cmp_gt_u32_e64 s0, s8, v11
	v_lshlrev_b32_e32 v15, 2, v15
	ds_load_b32 v15, v15
	s_waitcnt lgkmcnt(0)
	v_dual_cndmask_b32 v16, v15, v9 :: v_dual_cndmask_b32 v15, v8, v15
	s_delay_alu instid0(VALU_DEP_1) | instskip(NEXT) | instid1(VALU_DEP_1)
	v_cmp_ge_i32_e64 s1, v16, v15
	s_and_b32 s0, s0, s1
	s_delay_alu instid0(SALU_CYCLE_1) | instskip(NEXT) | instid1(SALU_CYCLE_1)
	s_or_b32 s0, s2, s0
	v_cndmask_b32_e64 v14, v12, v11, s0
	v_cndmask_b32_e64 v17, s13, v13, s0
	;; [unrolled: 1-line block ×3, first 2 shown]
	s_delay_alu instid0(VALU_DEP_3) | instskip(NEXT) | instid1(VALU_DEP_3)
	v_add_nc_u32_e32 v14, 1, v14
	v_add_nc_u32_e32 v17, -1, v17
	s_delay_alu instid0(VALU_DEP_2) | instskip(NEXT) | instid1(VALU_DEP_2)
	v_cndmask_b32_e64 v11, v11, v14, s0
	v_min_u32_e32 v17, v14, v17
	v_cndmask_b32_e64 v12, v14, v12, s0
	s_delay_alu instid0(VALU_DEP_3) | instskip(NEXT) | instid1(VALU_DEP_3)
	v_cmp_gt_u32_e64 s1, s8, v11
	v_lshlrev_b32_e32 v17, 2, v17
	s_delay_alu instid0(VALU_DEP_3) | instskip(SKIP_4) | instid1(VALU_DEP_1)
	v_cmp_le_u32_e64 s3, s13, v12
	ds_load_b32 v17, v17
	s_waitcnt lgkmcnt(0)
	v_cndmask_b32_e64 v18, v17, v16, s0
	v_cndmask_b32_e64 v20, v15, v17, s0
	v_cmp_ge_i32_e64 s2, v18, v20
	s_delay_alu instid0(VALU_DEP_1) | instskip(NEXT) | instid1(SALU_CYCLE_1)
	s_and_b32 s1, s1, s2
	s_or_b32 s1, s3, s1
	s_delay_alu instid0(SALU_CYCLE_1) | instskip(SKIP_1) | instid1(VALU_DEP_2)
	v_cndmask_b32_e64 v14, v12, v11, s1
	v_cndmask_b32_e64 v17, s13, v13, s1
	v_add_nc_u32_e32 v14, 1, v14
	s_delay_alu instid0(VALU_DEP_2) | instskip(NEXT) | instid1(VALU_DEP_2)
	v_add_nc_u32_e32 v17, -1, v17
	v_cndmask_b32_e64 v11, v11, v14, s1
	s_delay_alu instid0(VALU_DEP_2) | instskip(SKIP_1) | instid1(VALU_DEP_3)
	v_min_u32_e32 v17, v14, v17
	v_cndmask_b32_e64 v12, v14, v12, s1
	v_cmp_gt_u32_e64 s2, s8, v11
	s_delay_alu instid0(VALU_DEP_3) | instskip(NEXT) | instid1(VALU_DEP_3)
	v_lshlrev_b32_e32 v17, 2, v17
	v_cmp_le_u32_e64 s4, s13, v12
	ds_load_b32 v17, v17
	s_waitcnt lgkmcnt(0)
	v_cndmask_b32_e64 v21, v17, v18, s1
	v_cndmask_b32_e64 v22, v20, v17, s1
	;; [unrolled: 1-line block ×3, first 2 shown]
	s_delay_alu instid0(VALU_DEP_2) | instskip(NEXT) | instid1(VALU_DEP_1)
	v_cmp_ge_i32_e64 s3, v21, v22
	s_and_b32 s2, s2, s3
	s_delay_alu instid0(SALU_CYCLE_1) | instskip(NEXT) | instid1(SALU_CYCLE_1)
	s_or_b32 s2, s4, s2
	v_cndmask_b32_e64 v14, v12, v11, s2
	v_cndmask_b32_e64 v17, s13, v13, s2
	;; [unrolled: 1-line block ×3, first 2 shown]
	s_delay_alu instid0(VALU_DEP_3) | instskip(NEXT) | instid1(VALU_DEP_3)
	v_add_nc_u32_e32 v14, 1, v14
	v_add_nc_u32_e32 v17, -1, v17
	s_delay_alu instid0(VALU_DEP_2) | instskip(NEXT) | instid1(VALU_DEP_2)
	v_cndmask_b32_e64 v11, v11, v14, s2
	v_min_u32_e32 v17, v14, v17
	v_cndmask_b32_e64 v12, v14, v12, s2
	s_delay_alu instid0(VALU_DEP_3) | instskip(NEXT) | instid1(VALU_DEP_3)
	v_cmp_gt_u32_e64 s3, s8, v11
	v_lshlrev_b32_e32 v17, 2, v17
	s_delay_alu instid0(VALU_DEP_3) | instskip(SKIP_4) | instid1(VALU_DEP_1)
	v_cmp_le_u32_e64 s5, s13, v12
	ds_load_b32 v17, v17
	s_waitcnt lgkmcnt(0)
	v_cndmask_b32_e64 v24, v17, v21, s2
	v_cndmask_b32_e64 v25, v22, v17, s2
	v_cmp_ge_i32_e64 s4, v24, v25
	s_delay_alu instid0(VALU_DEP_1) | instskip(NEXT) | instid1(SALU_CYCLE_1)
	s_and_b32 s3, s3, s4
	s_or_b32 s3, s5, s3
	s_delay_alu instid0(SALU_CYCLE_1) | instskip(SKIP_2) | instid1(VALU_DEP_3)
	v_cndmask_b32_e64 v14, v12, v11, s3
	v_cndmask_b32_e64 v17, s13, v13, s3
	;; [unrolled: 1-line block ×3, first 2 shown]
	v_add_nc_u32_e32 v14, 1, v14
	s_delay_alu instid0(VALU_DEP_3) | instskip(NEXT) | instid1(VALU_DEP_2)
	v_add_nc_u32_e32 v17, -1, v17
	v_cndmask_b32_e64 v11, v11, v14, s3
	s_delay_alu instid0(VALU_DEP_2) | instskip(SKIP_1) | instid1(VALU_DEP_3)
	v_min_u32_e32 v17, v14, v17
	v_cndmask_b32_e64 v12, v14, v12, s3
	v_cmp_gt_u32_e64 s4, s8, v11
	s_delay_alu instid0(VALU_DEP_3) | instskip(NEXT) | instid1(VALU_DEP_3)
	v_lshlrev_b32_e32 v17, 2, v17
	v_cmp_le_u32_e64 s6, s13, v12
	ds_load_b32 v17, v17
	s_waitcnt lgkmcnt(0)
	v_cndmask_b32_e64 v26, v17, v24, s3
	v_cndmask_b32_e64 v27, v25, v17, s3
	s_delay_alu instid0(VALU_DEP_1) | instskip(NEXT) | instid1(VALU_DEP_1)
	v_cmp_ge_i32_e64 s5, v26, v27
	s_and_b32 s4, s4, s5
	s_delay_alu instid0(SALU_CYCLE_1) | instskip(NEXT) | instid1(SALU_CYCLE_1)
	s_or_b32 s4, s6, s4
	v_cndmask_b32_e64 v14, v12, v11, s4
	v_cndmask_b32_e64 v17, s13, v13, s4
	;; [unrolled: 1-line block ×3, first 2 shown]
	s_delay_alu instid0(VALU_DEP_3) | instskip(NEXT) | instid1(VALU_DEP_3)
	v_add_nc_u32_e32 v14, 1, v14
	v_add_nc_u32_e32 v17, -1, v17
	s_delay_alu instid0(VALU_DEP_2) | instskip(NEXT) | instid1(VALU_DEP_2)
	v_cndmask_b32_e64 v11, v11, v14, s4
	v_min_u32_e32 v17, v14, v17
	v_cndmask_b32_e64 v12, v14, v12, s4
	s_delay_alu instid0(VALU_DEP_3) | instskip(NEXT) | instid1(VALU_DEP_3)
	v_cmp_gt_u32_e64 s5, s8, v11
	v_lshlrev_b32_e32 v17, 2, v17
	s_delay_alu instid0(VALU_DEP_3)
	v_cmp_le_u32_e64 s7, s13, v12
	ds_load_b32 v17, v17
	s_waitcnt lgkmcnt(0)
	v_cndmask_b32_e64 v28, v17, v26, s4
	v_cndmask_b32_e64 v29, v27, v17, s4
	v_cndmask_b32_e32 v17, v9, v8, vcc_lo
	s_delay_alu instid0(VALU_DEP_2) | instskip(NEXT) | instid1(VALU_DEP_1)
	v_cmp_ge_i32_e64 s6, v28, v29
	s_and_b32 s5, s5, s6
	s_delay_alu instid0(SALU_CYCLE_1) | instskip(NEXT) | instid1(SALU_CYCLE_1)
	s_or_b32 s5, s7, s5
	v_cndmask_b32_e64 v14, v12, v11, s5
	v_cndmask_b32_e64 v13, s13, v13, s5
	;; [unrolled: 1-line block ×3, first 2 shown]
	s_delay_alu instid0(VALU_DEP_3) | instskip(NEXT) | instid1(VALU_DEP_3)
	v_add_nc_u32_e32 v14, 1, v14
	v_add_nc_u32_e32 v13, -1, v13
	s_delay_alu instid0(VALU_DEP_2) | instskip(NEXT) | instid1(VALU_DEP_2)
	v_cndmask_b32_e64 v8, v11, v14, s5
	v_min_u32_e32 v13, v14, v13
	v_cndmask_b32_e64 v12, v14, v12, s5
	s_delay_alu instid0(VALU_DEP_3) | instskip(NEXT) | instid1(VALU_DEP_3)
	v_cmp_gt_u32_e32 vcc_lo, s8, v8
	v_lshlrev_b32_e32 v13, 2, v13
	s_delay_alu instid0(VALU_DEP_3) | instskip(SKIP_4) | instid1(VALU_DEP_1)
	v_cmp_le_u32_e64 s1, s13, v12
	ds_load_b32 v13, v13
	s_waitcnt lgkmcnt(0)
	v_cndmask_b32_e64 v9, v13, v28, s5
	v_cndmask_b32_e64 v11, v29, v13, s5
	v_cmp_ge_i32_e64 s0, v9, v11
	s_delay_alu instid0(VALU_DEP_1) | instskip(NEXT) | instid1(SALU_CYCLE_1)
	s_and_b32 s0, vcc_lo, s0
	s_or_b32 vcc_lo, s1, s0
	v_cndmask_b32_e32 v24, v9, v11, vcc_lo
.LBB17_58:
	s_or_b32 exec_lo, exec_lo, s9
	v_and_b32_e32 v8, 0x3fc, v0
	s_mov_b32 s13, 0
	s_sub_i32 s2, s14, s12
	s_lshl_b64 s[0:1], s[12:13], 2
	v_lshrrev_b32_e32 v16, 5, v1
	v_lshl_add_u32 v11, v0, 5, v8
	v_lshrrev_b32_e32 v15, 5, v2
	v_lshrrev_b32_e32 v14, 5, v3
	;; [unrolled: 1-line block ×6, first 2 shown]
	s_add_u32 s0, s10, s0
	s_addc_u32 s1, s11, s1
	s_cmpk_gt_u32 s2, 0x1fff
	s_barrier
	buffer_gl0_inv
	ds_store_2addr_b32 v11, v17, v19 offset1:1
	ds_store_2addr_b32 v11, v18, v23 offset0:2 offset1:3
	ds_store_2addr_b32 v11, v22, v21 offset0:4 offset1:5
	;; [unrolled: 1-line block ×3, first 2 shown]
	s_waitcnt lgkmcnt(0)
	s_cbranch_scc0 .LBB17_60
; %bb.59:
	v_lshrrev_b32_e32 v11, 5, v0
	v_add_lshl_u32 v17, v16, v0, 2
	v_add_lshl_u32 v18, v15, v0, 2
	;; [unrolled: 1-line block ×5, first 2 shown]
	s_barrier
	buffer_gl0_inv
	v_add_lshl_u32 v21, v12, v0, 2
	v_add_lshl_u32 v22, v9, v0, 2
	;; [unrolled: 1-line block ×3, first 2 shown]
	ds_load_b32 v24, v11
	ds_load_b32 v25, v17 offset:4096
	ds_load_b32 v26, v18 offset:8192
	ds_load_b32 v27, v19 offset:12288
	ds_load_b32 v28, v20 offset:16384
	ds_load_b32 v29, v21 offset:20480
	ds_load_b32 v30, v22 offset:24576
	ds_load_b32 v11, v23 offset:28672
	v_add_co_u32 v21, s3, s0, v10
	s_delay_alu instid0(VALU_DEP_1) | instskip(NEXT) | instid1(VALU_DEP_2)
	v_add_co_ci_u32_e64 v22, null, s1, 0, s3
	v_add_co_u32 v17, vcc_lo, v21, 0x2000
	s_delay_alu instid0(VALU_DEP_2)
	v_add_co_ci_u32_e32 v18, vcc_lo, 0, v22, vcc_lo
	v_add_co_u32 v19, vcc_lo, v21, 0x4000
	v_add_co_ci_u32_e32 v20, vcc_lo, 0, v22, vcc_lo
	v_add_co_u32 v21, vcc_lo, v21, 0x6000
	v_add_co_ci_u32_e32 v22, vcc_lo, 0, v22, vcc_lo
	s_waitcnt lgkmcnt(6)
	global_store_b32 v[17:18], v25, off offset:-4096
	s_waitcnt lgkmcnt(5)
	global_store_b32 v[17:18], v26, off
	s_waitcnt lgkmcnt(4)
	global_store_b32 v[19:20], v27, off offset:-4096
	s_waitcnt lgkmcnt(3)
	global_store_b32 v[19:20], v28, off
	s_waitcnt lgkmcnt(2)
	global_store_b32 v[21:22], v29, off offset:-4096
	s_mov_b32 s13, -1
	global_store_b32 v10, v24, s[0:1]
	s_waitcnt lgkmcnt(1)
	global_store_b32 v[21:22], v30, off
	s_cbranch_execz .LBB17_61
	s_branch .LBB17_70
.LBB17_60:
                                        ; implicit-def: $vgpr11
.LBB17_61:
	s_waitcnt lgkmcnt(0)
	v_add_lshl_u32 v11, v16, v0, 2
	v_add_lshl_u32 v15, v15, v0, 2
	;; [unrolled: 1-line block ×5, first 2 shown]
	s_waitcnt_vscnt null, 0x0
	s_barrier
	buffer_gl0_inv
	v_add_lshl_u32 v9, v9, v0, 2
	v_add_lshl_u32 v8, v8, v0, 2
	ds_load_b32 v17, v11 offset:4096
	ds_load_b32 v16, v15 offset:8192
	;; [unrolled: 1-line block ×7, first 2 shown]
	v_add_co_u32 v8, s3, s0, v10
	s_delay_alu instid0(VALU_DEP_1)
	v_add_co_ci_u32_e64 v9, null, s1, 0, s3
	s_mov_b32 s3, exec_lo
	v_cmpx_gt_u32_e64 s2, v0
	s_cbranch_execnz .LBB17_73
; %bb.62:
	s_or_b32 exec_lo, exec_lo, s3
	s_delay_alu instid0(SALU_CYCLE_1)
	s_mov_b32 s3, exec_lo
	v_cmpx_gt_u32_e64 s2, v1
	s_cbranch_execnz .LBB17_74
.LBB17_63:
	s_or_b32 exec_lo, exec_lo, s3
	s_delay_alu instid0(SALU_CYCLE_1)
	s_mov_b32 s3, exec_lo
	v_cmpx_gt_u32_e64 s2, v2
	s_cbranch_execnz .LBB17_75
.LBB17_64:
	s_or_b32 exec_lo, exec_lo, s3
	s_delay_alu instid0(SALU_CYCLE_1)
	s_mov_b32 s3, exec_lo
	v_cmpx_gt_u32_e64 s2, v3
	s_cbranch_execnz .LBB17_76
.LBB17_65:
	s_or_b32 exec_lo, exec_lo, s3
	s_delay_alu instid0(SALU_CYCLE_1)
	s_mov_b32 s3, exec_lo
	v_cmpx_gt_u32_e64 s2, v4
	s_cbranch_execnz .LBB17_77
.LBB17_66:
	s_or_b32 exec_lo, exec_lo, s3
	s_delay_alu instid0(SALU_CYCLE_1)
	s_mov_b32 s3, exec_lo
	v_cmpx_gt_u32_e64 s2, v5
	s_cbranch_execnz .LBB17_78
.LBB17_67:
	s_or_b32 exec_lo, exec_lo, s3
	s_delay_alu instid0(SALU_CYCLE_1)
	s_mov_b32 s3, exec_lo
	v_cmpx_gt_u32_e64 s2, v6
	s_cbranch_execz .LBB17_69
.LBB17_68:
	v_add_co_u32 v0, vcc_lo, 0x6000, v8
	v_add_co_ci_u32_e32 v1, vcc_lo, 0, v9, vcc_lo
	s_waitcnt lgkmcnt(1)
	global_store_b32 v[0:1], v12, off
.LBB17_69:
	s_or_b32 exec_lo, exec_lo, s3
	v_cmp_gt_u32_e64 s13, s2, v7
.LBB17_70:
	s_delay_alu instid0(VALU_DEP_1)
	s_and_saveexec_b32 s2, s13
	s_cbranch_execnz .LBB17_72
; %bb.71:
	s_nop 0
	s_sendmsg sendmsg(MSG_DEALLOC_VGPRS)
	s_endpgm
.LBB17_72:
	v_add_co_u32 v0, s0, s0, v10
	s_delay_alu instid0(VALU_DEP_1) | instskip(NEXT) | instid1(VALU_DEP_2)
	v_add_co_ci_u32_e64 v1, null, s1, 0, s0
	v_add_co_u32 v0, vcc_lo, 0x7000, v0
	s_delay_alu instid0(VALU_DEP_2)
	v_add_co_ci_u32_e32 v1, vcc_lo, 0, v1, vcc_lo
	s_waitcnt lgkmcnt(0)
	global_store_b32 v[0:1], v11, off
	s_nop 0
	s_sendmsg sendmsg(MSG_DEALLOC_VGPRS)
	s_endpgm
.LBB17_73:
	v_lshrrev_b32_e32 v18, 5, v0
	s_delay_alu instid0(VALU_DEP_1) | instskip(SKIP_4) | instid1(SALU_CYCLE_1)
	v_add_lshl_u32 v0, v18, v0, 2
	ds_load_b32 v0, v0
	s_waitcnt lgkmcnt(0)
	global_store_b32 v[8:9], v0, off
	s_or_b32 exec_lo, exec_lo, s3
	s_mov_b32 s3, exec_lo
	v_cmpx_gt_u32_e64 s2, v1
	s_cbranch_execz .LBB17_63
.LBB17_74:
	v_add_co_u32 v0, vcc_lo, 0x1000, v8
	v_add_co_ci_u32_e32 v1, vcc_lo, 0, v9, vcc_lo
	s_waitcnt lgkmcnt(6)
	global_store_b32 v[0:1], v17, off
	s_or_b32 exec_lo, exec_lo, s3
	s_delay_alu instid0(SALU_CYCLE_1)
	s_mov_b32 s3, exec_lo
	v_cmpx_gt_u32_e64 s2, v2
	s_cbranch_execz .LBB17_64
.LBB17_75:
	v_add_co_u32 v0, vcc_lo, 0x2000, v8
	v_add_co_ci_u32_e32 v1, vcc_lo, 0, v9, vcc_lo
	s_waitcnt lgkmcnt(5)
	global_store_b32 v[0:1], v16, off
	s_or_b32 exec_lo, exec_lo, s3
	s_delay_alu instid0(SALU_CYCLE_1)
	s_mov_b32 s3, exec_lo
	v_cmpx_gt_u32_e64 s2, v3
	s_cbranch_execz .LBB17_65
.LBB17_76:
	v_add_co_u32 v0, vcc_lo, 0x3000, v8
	v_add_co_ci_u32_e32 v1, vcc_lo, 0, v9, vcc_lo
	s_waitcnt lgkmcnt(4)
	global_store_b32 v[0:1], v15, off
	s_or_b32 exec_lo, exec_lo, s3
	s_delay_alu instid0(SALU_CYCLE_1)
	s_mov_b32 s3, exec_lo
	v_cmpx_gt_u32_e64 s2, v4
	s_cbranch_execz .LBB17_66
.LBB17_77:
	v_add_co_u32 v0, vcc_lo, 0x4000, v8
	v_add_co_ci_u32_e32 v1, vcc_lo, 0, v9, vcc_lo
	s_waitcnt lgkmcnt(3)
	global_store_b32 v[0:1], v14, off
	s_or_b32 exec_lo, exec_lo, s3
	s_delay_alu instid0(SALU_CYCLE_1)
	s_mov_b32 s3, exec_lo
	v_cmpx_gt_u32_e64 s2, v5
	s_cbranch_execz .LBB17_67
.LBB17_78:
	v_add_co_u32 v0, vcc_lo, 0x5000, v8
	v_add_co_ci_u32_e32 v1, vcc_lo, 0, v9, vcc_lo
	s_waitcnt lgkmcnt(2)
	global_store_b32 v[0:1], v13, off
	s_or_b32 exec_lo, exec_lo, s3
	s_delay_alu instid0(SALU_CYCLE_1)
	s_mov_b32 s3, exec_lo
	v_cmpx_gt_u32_e64 s2, v6
	s_cbranch_execnz .LBB17_68
	s_branch .LBB17_69
	.section	.rodata,"a",@progbits
	.p2align	6, 0x0
	.amdhsa_kernel _ZN7rocprim17ROCPRIM_400000_NS6detail17trampoline_kernelINS0_14default_configENS1_21merge_config_selectorIiNS0_10empty_typeEEEZNS1_10merge_implIS3_N6thrust23THRUST_200600_302600_NS6detail15normal_iteratorINS9_10device_ptrIKiEEEESF_NSB_INSC_IiEEEEPS5_SI_SI_NS9_4lessIiEEEE10hipError_tPvRmT0_T1_T2_T3_T4_T5_mmT6_P12ihipStream_tbEUlT_E0_NS1_11comp_targetILNS1_3genE9ELNS1_11target_archE1100ELNS1_3gpuE3ELNS1_3repE0EEENS1_30default_config_static_selectorELNS0_4arch9wavefront6targetE0EEEvSP_
		.amdhsa_group_segment_fixed_size 33792
		.amdhsa_private_segment_fixed_size 0
		.amdhsa_kernarg_size 88
		.amdhsa_user_sgpr_count 15
		.amdhsa_user_sgpr_dispatch_ptr 0
		.amdhsa_user_sgpr_queue_ptr 0
		.amdhsa_user_sgpr_kernarg_segment_ptr 1
		.amdhsa_user_sgpr_dispatch_id 0
		.amdhsa_user_sgpr_private_segment_size 0
		.amdhsa_wavefront_size32 1
		.amdhsa_uses_dynamic_stack 0
		.amdhsa_enable_private_segment 0
		.amdhsa_system_sgpr_workgroup_id_x 1
		.amdhsa_system_sgpr_workgroup_id_y 0
		.amdhsa_system_sgpr_workgroup_id_z 0
		.amdhsa_system_sgpr_workgroup_info 0
		.amdhsa_system_vgpr_workitem_id 0
		.amdhsa_next_free_vgpr 31
		.amdhsa_next_free_sgpr 20
		.amdhsa_reserve_vcc 1
		.amdhsa_float_round_mode_32 0
		.amdhsa_float_round_mode_16_64 0
		.amdhsa_float_denorm_mode_32 3
		.amdhsa_float_denorm_mode_16_64 3
		.amdhsa_dx10_clamp 1
		.amdhsa_ieee_mode 1
		.amdhsa_fp16_overflow 0
		.amdhsa_workgroup_processor_mode 1
		.amdhsa_memory_ordered 1
		.amdhsa_forward_progress 0
		.amdhsa_shared_vgpr_count 0
		.amdhsa_exception_fp_ieee_invalid_op 0
		.amdhsa_exception_fp_denorm_src 0
		.amdhsa_exception_fp_ieee_div_zero 0
		.amdhsa_exception_fp_ieee_overflow 0
		.amdhsa_exception_fp_ieee_underflow 0
		.amdhsa_exception_fp_ieee_inexact 0
		.amdhsa_exception_int_div_zero 0
	.end_amdhsa_kernel
	.section	.text._ZN7rocprim17ROCPRIM_400000_NS6detail17trampoline_kernelINS0_14default_configENS1_21merge_config_selectorIiNS0_10empty_typeEEEZNS1_10merge_implIS3_N6thrust23THRUST_200600_302600_NS6detail15normal_iteratorINS9_10device_ptrIKiEEEESF_NSB_INSC_IiEEEEPS5_SI_SI_NS9_4lessIiEEEE10hipError_tPvRmT0_T1_T2_T3_T4_T5_mmT6_P12ihipStream_tbEUlT_E0_NS1_11comp_targetILNS1_3genE9ELNS1_11target_archE1100ELNS1_3gpuE3ELNS1_3repE0EEENS1_30default_config_static_selectorELNS0_4arch9wavefront6targetE0EEEvSP_,"axG",@progbits,_ZN7rocprim17ROCPRIM_400000_NS6detail17trampoline_kernelINS0_14default_configENS1_21merge_config_selectorIiNS0_10empty_typeEEEZNS1_10merge_implIS3_N6thrust23THRUST_200600_302600_NS6detail15normal_iteratorINS9_10device_ptrIKiEEEESF_NSB_INSC_IiEEEEPS5_SI_SI_NS9_4lessIiEEEE10hipError_tPvRmT0_T1_T2_T3_T4_T5_mmT6_P12ihipStream_tbEUlT_E0_NS1_11comp_targetILNS1_3genE9ELNS1_11target_archE1100ELNS1_3gpuE3ELNS1_3repE0EEENS1_30default_config_static_selectorELNS0_4arch9wavefront6targetE0EEEvSP_,comdat
.Lfunc_end17:
	.size	_ZN7rocprim17ROCPRIM_400000_NS6detail17trampoline_kernelINS0_14default_configENS1_21merge_config_selectorIiNS0_10empty_typeEEEZNS1_10merge_implIS3_N6thrust23THRUST_200600_302600_NS6detail15normal_iteratorINS9_10device_ptrIKiEEEESF_NSB_INSC_IiEEEEPS5_SI_SI_NS9_4lessIiEEEE10hipError_tPvRmT0_T1_T2_T3_T4_T5_mmT6_P12ihipStream_tbEUlT_E0_NS1_11comp_targetILNS1_3genE9ELNS1_11target_archE1100ELNS1_3gpuE3ELNS1_3repE0EEENS1_30default_config_static_selectorELNS0_4arch9wavefront6targetE0EEEvSP_, .Lfunc_end17-_ZN7rocprim17ROCPRIM_400000_NS6detail17trampoline_kernelINS0_14default_configENS1_21merge_config_selectorIiNS0_10empty_typeEEEZNS1_10merge_implIS3_N6thrust23THRUST_200600_302600_NS6detail15normal_iteratorINS9_10device_ptrIKiEEEESF_NSB_INSC_IiEEEEPS5_SI_SI_NS9_4lessIiEEEE10hipError_tPvRmT0_T1_T2_T3_T4_T5_mmT6_P12ihipStream_tbEUlT_E0_NS1_11comp_targetILNS1_3genE9ELNS1_11target_archE1100ELNS1_3gpuE3ELNS1_3repE0EEENS1_30default_config_static_selectorELNS0_4arch9wavefront6targetE0EEEvSP_
                                        ; -- End function
	.section	.AMDGPU.csdata,"",@progbits
; Kernel info:
; codeLenInByte = 3848
; NumSgprs: 22
; NumVgprs: 31
; ScratchSize: 0
; MemoryBound: 0
; FloatMode: 240
; IeeeMode: 1
; LDSByteSize: 33792 bytes/workgroup (compile time only)
; SGPRBlocks: 2
; VGPRBlocks: 3
; NumSGPRsForWavesPerEU: 22
; NumVGPRsForWavesPerEU: 31
; Occupancy: 16
; WaveLimiterHint : 1
; COMPUTE_PGM_RSRC2:SCRATCH_EN: 0
; COMPUTE_PGM_RSRC2:USER_SGPR: 15
; COMPUTE_PGM_RSRC2:TRAP_HANDLER: 0
; COMPUTE_PGM_RSRC2:TGID_X_EN: 1
; COMPUTE_PGM_RSRC2:TGID_Y_EN: 0
; COMPUTE_PGM_RSRC2:TGID_Z_EN: 0
; COMPUTE_PGM_RSRC2:TIDIG_COMP_CNT: 0
	.section	.text._ZN7rocprim17ROCPRIM_400000_NS6detail17trampoline_kernelINS0_14default_configENS1_21merge_config_selectorIiNS0_10empty_typeEEEZNS1_10merge_implIS3_N6thrust23THRUST_200600_302600_NS6detail15normal_iteratorINS9_10device_ptrIKiEEEESF_NSB_INSC_IiEEEEPS5_SI_SI_NS9_4lessIiEEEE10hipError_tPvRmT0_T1_T2_T3_T4_T5_mmT6_P12ihipStream_tbEUlT_E0_NS1_11comp_targetILNS1_3genE8ELNS1_11target_archE1030ELNS1_3gpuE2ELNS1_3repE0EEENS1_30default_config_static_selectorELNS0_4arch9wavefront6targetE0EEEvSP_,"axG",@progbits,_ZN7rocprim17ROCPRIM_400000_NS6detail17trampoline_kernelINS0_14default_configENS1_21merge_config_selectorIiNS0_10empty_typeEEEZNS1_10merge_implIS3_N6thrust23THRUST_200600_302600_NS6detail15normal_iteratorINS9_10device_ptrIKiEEEESF_NSB_INSC_IiEEEEPS5_SI_SI_NS9_4lessIiEEEE10hipError_tPvRmT0_T1_T2_T3_T4_T5_mmT6_P12ihipStream_tbEUlT_E0_NS1_11comp_targetILNS1_3genE8ELNS1_11target_archE1030ELNS1_3gpuE2ELNS1_3repE0EEENS1_30default_config_static_selectorELNS0_4arch9wavefront6targetE0EEEvSP_,comdat
	.protected	_ZN7rocprim17ROCPRIM_400000_NS6detail17trampoline_kernelINS0_14default_configENS1_21merge_config_selectorIiNS0_10empty_typeEEEZNS1_10merge_implIS3_N6thrust23THRUST_200600_302600_NS6detail15normal_iteratorINS9_10device_ptrIKiEEEESF_NSB_INSC_IiEEEEPS5_SI_SI_NS9_4lessIiEEEE10hipError_tPvRmT0_T1_T2_T3_T4_T5_mmT6_P12ihipStream_tbEUlT_E0_NS1_11comp_targetILNS1_3genE8ELNS1_11target_archE1030ELNS1_3gpuE2ELNS1_3repE0EEENS1_30default_config_static_selectorELNS0_4arch9wavefront6targetE0EEEvSP_ ; -- Begin function _ZN7rocprim17ROCPRIM_400000_NS6detail17trampoline_kernelINS0_14default_configENS1_21merge_config_selectorIiNS0_10empty_typeEEEZNS1_10merge_implIS3_N6thrust23THRUST_200600_302600_NS6detail15normal_iteratorINS9_10device_ptrIKiEEEESF_NSB_INSC_IiEEEEPS5_SI_SI_NS9_4lessIiEEEE10hipError_tPvRmT0_T1_T2_T3_T4_T5_mmT6_P12ihipStream_tbEUlT_E0_NS1_11comp_targetILNS1_3genE8ELNS1_11target_archE1030ELNS1_3gpuE2ELNS1_3repE0EEENS1_30default_config_static_selectorELNS0_4arch9wavefront6targetE0EEEvSP_
	.globl	_ZN7rocprim17ROCPRIM_400000_NS6detail17trampoline_kernelINS0_14default_configENS1_21merge_config_selectorIiNS0_10empty_typeEEEZNS1_10merge_implIS3_N6thrust23THRUST_200600_302600_NS6detail15normal_iteratorINS9_10device_ptrIKiEEEESF_NSB_INSC_IiEEEEPS5_SI_SI_NS9_4lessIiEEEE10hipError_tPvRmT0_T1_T2_T3_T4_T5_mmT6_P12ihipStream_tbEUlT_E0_NS1_11comp_targetILNS1_3genE8ELNS1_11target_archE1030ELNS1_3gpuE2ELNS1_3repE0EEENS1_30default_config_static_selectorELNS0_4arch9wavefront6targetE0EEEvSP_
	.p2align	8
	.type	_ZN7rocprim17ROCPRIM_400000_NS6detail17trampoline_kernelINS0_14default_configENS1_21merge_config_selectorIiNS0_10empty_typeEEEZNS1_10merge_implIS3_N6thrust23THRUST_200600_302600_NS6detail15normal_iteratorINS9_10device_ptrIKiEEEESF_NSB_INSC_IiEEEEPS5_SI_SI_NS9_4lessIiEEEE10hipError_tPvRmT0_T1_T2_T3_T4_T5_mmT6_P12ihipStream_tbEUlT_E0_NS1_11comp_targetILNS1_3genE8ELNS1_11target_archE1030ELNS1_3gpuE2ELNS1_3repE0EEENS1_30default_config_static_selectorELNS0_4arch9wavefront6targetE0EEEvSP_,@function
_ZN7rocprim17ROCPRIM_400000_NS6detail17trampoline_kernelINS0_14default_configENS1_21merge_config_selectorIiNS0_10empty_typeEEEZNS1_10merge_implIS3_N6thrust23THRUST_200600_302600_NS6detail15normal_iteratorINS9_10device_ptrIKiEEEESF_NSB_INSC_IiEEEEPS5_SI_SI_NS9_4lessIiEEEE10hipError_tPvRmT0_T1_T2_T3_T4_T5_mmT6_P12ihipStream_tbEUlT_E0_NS1_11comp_targetILNS1_3genE8ELNS1_11target_archE1030ELNS1_3gpuE2ELNS1_3repE0EEENS1_30default_config_static_selectorELNS0_4arch9wavefront6targetE0EEEvSP_: ; @_ZN7rocprim17ROCPRIM_400000_NS6detail17trampoline_kernelINS0_14default_configENS1_21merge_config_selectorIiNS0_10empty_typeEEEZNS1_10merge_implIS3_N6thrust23THRUST_200600_302600_NS6detail15normal_iteratorINS9_10device_ptrIKiEEEESF_NSB_INSC_IiEEEEPS5_SI_SI_NS9_4lessIiEEEE10hipError_tPvRmT0_T1_T2_T3_T4_T5_mmT6_P12ihipStream_tbEUlT_E0_NS1_11comp_targetILNS1_3genE8ELNS1_11target_archE1030ELNS1_3gpuE2ELNS1_3repE0EEENS1_30default_config_static_selectorELNS0_4arch9wavefront6targetE0EEEvSP_
; %bb.0:
	.section	.rodata,"a",@progbits
	.p2align	6, 0x0
	.amdhsa_kernel _ZN7rocprim17ROCPRIM_400000_NS6detail17trampoline_kernelINS0_14default_configENS1_21merge_config_selectorIiNS0_10empty_typeEEEZNS1_10merge_implIS3_N6thrust23THRUST_200600_302600_NS6detail15normal_iteratorINS9_10device_ptrIKiEEEESF_NSB_INSC_IiEEEEPS5_SI_SI_NS9_4lessIiEEEE10hipError_tPvRmT0_T1_T2_T3_T4_T5_mmT6_P12ihipStream_tbEUlT_E0_NS1_11comp_targetILNS1_3genE8ELNS1_11target_archE1030ELNS1_3gpuE2ELNS1_3repE0EEENS1_30default_config_static_selectorELNS0_4arch9wavefront6targetE0EEEvSP_
		.amdhsa_group_segment_fixed_size 0
		.amdhsa_private_segment_fixed_size 0
		.amdhsa_kernarg_size 88
		.amdhsa_user_sgpr_count 15
		.amdhsa_user_sgpr_dispatch_ptr 0
		.amdhsa_user_sgpr_queue_ptr 0
		.amdhsa_user_sgpr_kernarg_segment_ptr 1
		.amdhsa_user_sgpr_dispatch_id 0
		.amdhsa_user_sgpr_private_segment_size 0
		.amdhsa_wavefront_size32 1
		.amdhsa_uses_dynamic_stack 0
		.amdhsa_enable_private_segment 0
		.amdhsa_system_sgpr_workgroup_id_x 1
		.amdhsa_system_sgpr_workgroup_id_y 0
		.amdhsa_system_sgpr_workgroup_id_z 0
		.amdhsa_system_sgpr_workgroup_info 0
		.amdhsa_system_vgpr_workitem_id 0
		.amdhsa_next_free_vgpr 1
		.amdhsa_next_free_sgpr 1
		.amdhsa_reserve_vcc 0
		.amdhsa_float_round_mode_32 0
		.amdhsa_float_round_mode_16_64 0
		.amdhsa_float_denorm_mode_32 3
		.amdhsa_float_denorm_mode_16_64 3
		.amdhsa_dx10_clamp 1
		.amdhsa_ieee_mode 1
		.amdhsa_fp16_overflow 0
		.amdhsa_workgroup_processor_mode 1
		.amdhsa_memory_ordered 1
		.amdhsa_forward_progress 0
		.amdhsa_shared_vgpr_count 0
		.amdhsa_exception_fp_ieee_invalid_op 0
		.amdhsa_exception_fp_denorm_src 0
		.amdhsa_exception_fp_ieee_div_zero 0
		.amdhsa_exception_fp_ieee_overflow 0
		.amdhsa_exception_fp_ieee_underflow 0
		.amdhsa_exception_fp_ieee_inexact 0
		.amdhsa_exception_int_div_zero 0
	.end_amdhsa_kernel
	.section	.text._ZN7rocprim17ROCPRIM_400000_NS6detail17trampoline_kernelINS0_14default_configENS1_21merge_config_selectorIiNS0_10empty_typeEEEZNS1_10merge_implIS3_N6thrust23THRUST_200600_302600_NS6detail15normal_iteratorINS9_10device_ptrIKiEEEESF_NSB_INSC_IiEEEEPS5_SI_SI_NS9_4lessIiEEEE10hipError_tPvRmT0_T1_T2_T3_T4_T5_mmT6_P12ihipStream_tbEUlT_E0_NS1_11comp_targetILNS1_3genE8ELNS1_11target_archE1030ELNS1_3gpuE2ELNS1_3repE0EEENS1_30default_config_static_selectorELNS0_4arch9wavefront6targetE0EEEvSP_,"axG",@progbits,_ZN7rocprim17ROCPRIM_400000_NS6detail17trampoline_kernelINS0_14default_configENS1_21merge_config_selectorIiNS0_10empty_typeEEEZNS1_10merge_implIS3_N6thrust23THRUST_200600_302600_NS6detail15normal_iteratorINS9_10device_ptrIKiEEEESF_NSB_INSC_IiEEEEPS5_SI_SI_NS9_4lessIiEEEE10hipError_tPvRmT0_T1_T2_T3_T4_T5_mmT6_P12ihipStream_tbEUlT_E0_NS1_11comp_targetILNS1_3genE8ELNS1_11target_archE1030ELNS1_3gpuE2ELNS1_3repE0EEENS1_30default_config_static_selectorELNS0_4arch9wavefront6targetE0EEEvSP_,comdat
.Lfunc_end18:
	.size	_ZN7rocprim17ROCPRIM_400000_NS6detail17trampoline_kernelINS0_14default_configENS1_21merge_config_selectorIiNS0_10empty_typeEEEZNS1_10merge_implIS3_N6thrust23THRUST_200600_302600_NS6detail15normal_iteratorINS9_10device_ptrIKiEEEESF_NSB_INSC_IiEEEEPS5_SI_SI_NS9_4lessIiEEEE10hipError_tPvRmT0_T1_T2_T3_T4_T5_mmT6_P12ihipStream_tbEUlT_E0_NS1_11comp_targetILNS1_3genE8ELNS1_11target_archE1030ELNS1_3gpuE2ELNS1_3repE0EEENS1_30default_config_static_selectorELNS0_4arch9wavefront6targetE0EEEvSP_, .Lfunc_end18-_ZN7rocprim17ROCPRIM_400000_NS6detail17trampoline_kernelINS0_14default_configENS1_21merge_config_selectorIiNS0_10empty_typeEEEZNS1_10merge_implIS3_N6thrust23THRUST_200600_302600_NS6detail15normal_iteratorINS9_10device_ptrIKiEEEESF_NSB_INSC_IiEEEEPS5_SI_SI_NS9_4lessIiEEEE10hipError_tPvRmT0_T1_T2_T3_T4_T5_mmT6_P12ihipStream_tbEUlT_E0_NS1_11comp_targetILNS1_3genE8ELNS1_11target_archE1030ELNS1_3gpuE2ELNS1_3repE0EEENS1_30default_config_static_selectorELNS0_4arch9wavefront6targetE0EEEvSP_
                                        ; -- End function
	.section	.AMDGPU.csdata,"",@progbits
; Kernel info:
; codeLenInByte = 0
; NumSgprs: 0
; NumVgprs: 0
; ScratchSize: 0
; MemoryBound: 0
; FloatMode: 240
; IeeeMode: 1
; LDSByteSize: 0 bytes/workgroup (compile time only)
; SGPRBlocks: 0
; VGPRBlocks: 0
; NumSGPRsForWavesPerEU: 1
; NumVGPRsForWavesPerEU: 1
; Occupancy: 16
; WaveLimiterHint : 0
; COMPUTE_PGM_RSRC2:SCRATCH_EN: 0
; COMPUTE_PGM_RSRC2:USER_SGPR: 15
; COMPUTE_PGM_RSRC2:TRAP_HANDLER: 0
; COMPUTE_PGM_RSRC2:TGID_X_EN: 1
; COMPUTE_PGM_RSRC2:TGID_Y_EN: 0
; COMPUTE_PGM_RSRC2:TGID_Z_EN: 0
; COMPUTE_PGM_RSRC2:TIDIG_COMP_CNT: 0
	.section	.text._ZN7rocprim17ROCPRIM_400000_NS6detail31init_lookback_scan_state_kernelINS1_19lookback_scan_stateIlLb0ELb1EEENS1_16ordered_block_idIjEEEEvT_jT0_jPNS7_10value_typeE,"axG",@progbits,_ZN7rocprim17ROCPRIM_400000_NS6detail31init_lookback_scan_state_kernelINS1_19lookback_scan_stateIlLb0ELb1EEENS1_16ordered_block_idIjEEEEvT_jT0_jPNS7_10value_typeE,comdat
	.protected	_ZN7rocprim17ROCPRIM_400000_NS6detail31init_lookback_scan_state_kernelINS1_19lookback_scan_stateIlLb0ELb1EEENS1_16ordered_block_idIjEEEEvT_jT0_jPNS7_10value_typeE ; -- Begin function _ZN7rocprim17ROCPRIM_400000_NS6detail31init_lookback_scan_state_kernelINS1_19lookback_scan_stateIlLb0ELb1EEENS1_16ordered_block_idIjEEEEvT_jT0_jPNS7_10value_typeE
	.globl	_ZN7rocprim17ROCPRIM_400000_NS6detail31init_lookback_scan_state_kernelINS1_19lookback_scan_stateIlLb0ELb1EEENS1_16ordered_block_idIjEEEEvT_jT0_jPNS7_10value_typeE
	.p2align	8
	.type	_ZN7rocprim17ROCPRIM_400000_NS6detail31init_lookback_scan_state_kernelINS1_19lookback_scan_stateIlLb0ELb1EEENS1_16ordered_block_idIjEEEEvT_jT0_jPNS7_10value_typeE,@function
_ZN7rocprim17ROCPRIM_400000_NS6detail31init_lookback_scan_state_kernelINS1_19lookback_scan_stateIlLb0ELb1EEENS1_16ordered_block_idIjEEEEvT_jT0_jPNS7_10value_typeE: ; @_ZN7rocprim17ROCPRIM_400000_NS6detail31init_lookback_scan_state_kernelINS1_19lookback_scan_stateIlLb0ELb1EEENS1_16ordered_block_idIjEEEEvT_jT0_jPNS7_10value_typeE
; %bb.0:
	s_clause 0x3
	s_load_b32 s6, s[0:1], 0x34
	s_load_b64 s[4:5], s[0:1], 0x20
	s_load_b64 s[2:3], s[0:1], 0x0
	s_load_b32 s8, s[0:1], 0x8
	s_waitcnt lgkmcnt(0)
	s_and_b32 s6, s6, 0xffff
	s_cmp_eq_u64 s[4:5], 0
	v_mad_u64_u32 v[1:2], null, s15, s6, v[0:1]
	s_cbranch_scc1 .LBB19_8
; %bb.1:
	s_load_b32 s6, s[0:1], 0x18
	s_waitcnt lgkmcnt(0)
	s_cmp_lt_u32 s6, s8
	s_cselect_b32 s7, s6, 0
	s_delay_alu instid0(VALU_DEP_1) | instid1(SALU_CYCLE_1)
	v_cmp_eq_u32_e32 vcc_lo, s7, v1
	s_mov_b32 s7, 0
	s_and_saveexec_b32 s9, vcc_lo
	s_cbranch_execz .LBB19_7
; %bb.2:
	s_add_i32 s6, s6, 32
	s_mov_b32 s10, exec_lo
	s_lshl_b64 s[6:7], s[6:7], 4
	v_mov_b32_e32 v6, 0
	s_add_u32 s6, s2, s6
	s_addc_u32 s7, s3, s7
	s_delay_alu instid0(SALU_CYCLE_1) | instskip(SKIP_2) | instid1(VALU_DEP_1)
	v_dual_mov_b32 v2, s6 :: v_dual_mov_b32 v3, s7
	;;#ASMSTART
	global_load_dwordx4 v[2:5], v[2:3] off glc	
s_waitcnt vmcnt(0)
	;;#ASMEND
	v_and_b32_e32 v5, 0xff, v4
	v_cmpx_eq_u64_e32 0, v[5:6]
	s_cbranch_execz .LBB19_6
; %bb.3:
	v_dual_mov_b32 v8, s7 :: v_dual_mov_b32 v7, s6
	s_mov_b32 s6, 0
.LBB19_4:                               ; =>This Inner Loop Header: Depth=1
	;;#ASMSTART
	global_load_dwordx4 v[2:5], v[7:8] off glc	
s_waitcnt vmcnt(0)
	;;#ASMEND
	v_and_b32_e32 v5, 0xff, v4
	s_delay_alu instid0(VALU_DEP_1) | instskip(SKIP_1) | instid1(SALU_CYCLE_1)
	v_cmp_ne_u64_e32 vcc_lo, 0, v[5:6]
	s_or_b32 s6, vcc_lo, s6
	s_and_not1_b32 exec_lo, exec_lo, s6
	s_cbranch_execnz .LBB19_4
; %bb.5:
	s_or_b32 exec_lo, exec_lo, s6
.LBB19_6:
	s_delay_alu instid0(SALU_CYCLE_1)
	s_or_b32 exec_lo, exec_lo, s10
	v_mov_b32_e32 v0, 0
	global_store_b64 v0, v[2:3], s[4:5]
.LBB19_7:
	s_or_b32 exec_lo, exec_lo, s9
.LBB19_8:
	s_delay_alu instid0(SALU_CYCLE_1) | instskip(NEXT) | instid1(VALU_DEP_1)
	s_mov_b32 s4, exec_lo
	v_cmpx_eq_u32_e32 0, v1
	s_cbranch_execz .LBB19_10
; %bb.9:
	s_load_b64 s[0:1], s[0:1], 0x10
	v_mov_b32_e32 v0, 0
	s_waitcnt lgkmcnt(0)
	global_store_b32 v0, v0, s[0:1]
.LBB19_10:
	s_or_b32 exec_lo, exec_lo, s4
	s_delay_alu instid0(SALU_CYCLE_1)
	s_mov_b32 s0, exec_lo
	v_cmpx_gt_u32_e64 s8, v1
	s_cbranch_execz .LBB19_12
; %bb.11:
	v_dual_mov_b32 v3, 0 :: v_dual_add_nc_u32 v2, 32, v1
	s_delay_alu instid0(VALU_DEP_1) | instskip(SKIP_2) | instid1(VALU_DEP_3)
	v_lshlrev_b64 v[5:6], 4, v[2:3]
	v_mov_b32_e32 v2, v3
	v_mov_b32_e32 v4, v3
	v_add_co_u32 v7, vcc_lo, s2, v5
	s_delay_alu instid0(VALU_DEP_4)
	v_add_co_ci_u32_e32 v8, vcc_lo, s3, v6, vcc_lo
	v_mov_b32_e32 v5, v3
	global_store_b128 v[7:8], v[2:5], off
.LBB19_12:
	s_or_b32 exec_lo, exec_lo, s0
	s_delay_alu instid0(SALU_CYCLE_1)
	s_mov_b32 s0, exec_lo
	v_cmpx_gt_u32_e32 32, v1
	s_cbranch_execz .LBB19_14
; %bb.13:
	v_dual_mov_b32 v2, 0 :: v_dual_mov_b32 v3, 0xff
	s_delay_alu instid0(VALU_DEP_1) | instskip(SKIP_1) | instid1(VALU_DEP_2)
	v_lshlrev_b64 v[4:5], 4, v[1:2]
	v_mov_b32_e32 v1, v2
	v_add_co_u32 v6, vcc_lo, s2, v4
	s_delay_alu instid0(VALU_DEP_3)
	v_add_co_ci_u32_e32 v7, vcc_lo, s3, v5, vcc_lo
	v_mov_b32_e32 v4, v2
	global_store_b128 v[6:7], v[1:4], off
.LBB19_14:
	s_nop 0
	s_sendmsg sendmsg(MSG_DEALLOC_VGPRS)
	s_endpgm
	.section	.rodata,"a",@progbits
	.p2align	6, 0x0
	.amdhsa_kernel _ZN7rocprim17ROCPRIM_400000_NS6detail31init_lookback_scan_state_kernelINS1_19lookback_scan_stateIlLb0ELb1EEENS1_16ordered_block_idIjEEEEvT_jT0_jPNS7_10value_typeE
		.amdhsa_group_segment_fixed_size 0
		.amdhsa_private_segment_fixed_size 0
		.amdhsa_kernarg_size 296
		.amdhsa_user_sgpr_count 15
		.amdhsa_user_sgpr_dispatch_ptr 0
		.amdhsa_user_sgpr_queue_ptr 0
		.amdhsa_user_sgpr_kernarg_segment_ptr 1
		.amdhsa_user_sgpr_dispatch_id 0
		.amdhsa_user_sgpr_private_segment_size 0
		.amdhsa_wavefront_size32 1
		.amdhsa_uses_dynamic_stack 0
		.amdhsa_enable_private_segment 0
		.amdhsa_system_sgpr_workgroup_id_x 1
		.amdhsa_system_sgpr_workgroup_id_y 0
		.amdhsa_system_sgpr_workgroup_id_z 0
		.amdhsa_system_sgpr_workgroup_info 0
		.amdhsa_system_vgpr_workitem_id 0
		.amdhsa_next_free_vgpr 9
		.amdhsa_next_free_sgpr 16
		.amdhsa_reserve_vcc 1
		.amdhsa_float_round_mode_32 0
		.amdhsa_float_round_mode_16_64 0
		.amdhsa_float_denorm_mode_32 3
		.amdhsa_float_denorm_mode_16_64 3
		.amdhsa_dx10_clamp 1
		.amdhsa_ieee_mode 1
		.amdhsa_fp16_overflow 0
		.amdhsa_workgroup_processor_mode 1
		.amdhsa_memory_ordered 1
		.amdhsa_forward_progress 0
		.amdhsa_shared_vgpr_count 0
		.amdhsa_exception_fp_ieee_invalid_op 0
		.amdhsa_exception_fp_denorm_src 0
		.amdhsa_exception_fp_ieee_div_zero 0
		.amdhsa_exception_fp_ieee_overflow 0
		.amdhsa_exception_fp_ieee_underflow 0
		.amdhsa_exception_fp_ieee_inexact 0
		.amdhsa_exception_int_div_zero 0
	.end_amdhsa_kernel
	.section	.text._ZN7rocprim17ROCPRIM_400000_NS6detail31init_lookback_scan_state_kernelINS1_19lookback_scan_stateIlLb0ELb1EEENS1_16ordered_block_idIjEEEEvT_jT0_jPNS7_10value_typeE,"axG",@progbits,_ZN7rocprim17ROCPRIM_400000_NS6detail31init_lookback_scan_state_kernelINS1_19lookback_scan_stateIlLb0ELb1EEENS1_16ordered_block_idIjEEEEvT_jT0_jPNS7_10value_typeE,comdat
.Lfunc_end19:
	.size	_ZN7rocprim17ROCPRIM_400000_NS6detail31init_lookback_scan_state_kernelINS1_19lookback_scan_stateIlLb0ELb1EEENS1_16ordered_block_idIjEEEEvT_jT0_jPNS7_10value_typeE, .Lfunc_end19-_ZN7rocprim17ROCPRIM_400000_NS6detail31init_lookback_scan_state_kernelINS1_19lookback_scan_stateIlLb0ELb1EEENS1_16ordered_block_idIjEEEEvT_jT0_jPNS7_10value_typeE
                                        ; -- End function
	.section	.AMDGPU.csdata,"",@progbits
; Kernel info:
; codeLenInByte = 512
; NumSgprs: 18
; NumVgprs: 9
; ScratchSize: 0
; MemoryBound: 0
; FloatMode: 240
; IeeeMode: 1
; LDSByteSize: 0 bytes/workgroup (compile time only)
; SGPRBlocks: 2
; VGPRBlocks: 1
; NumSGPRsForWavesPerEU: 18
; NumVGPRsForWavesPerEU: 9
; Occupancy: 16
; WaveLimiterHint : 0
; COMPUTE_PGM_RSRC2:SCRATCH_EN: 0
; COMPUTE_PGM_RSRC2:USER_SGPR: 15
; COMPUTE_PGM_RSRC2:TRAP_HANDLER: 0
; COMPUTE_PGM_RSRC2:TGID_X_EN: 1
; COMPUTE_PGM_RSRC2:TGID_Y_EN: 0
; COMPUTE_PGM_RSRC2:TGID_Z_EN: 0
; COMPUTE_PGM_RSRC2:TIDIG_COMP_CNT: 0
	.section	.text._ZN6thrust23THRUST_200600_302600_NS11hip_rocprim14__parallel_for6kernelILj256EZNS1_16__set_operations9doit_stepILb0ENS0_6detail15normal_iteratorINS0_10device_ptrIKiEEEESB_PiSC_lNS7_INS8_IiEEEESC_NS0_4lessIiEENS4_16serial_set_unionEEE10hipError_tPvRmT0_T1_T2_T3_T4_SP_T5_T6_PSP_T7_T8_P12ihipStream_tbEUllE_jLj1EEEvSL_SM_SM_,"axG",@progbits,_ZN6thrust23THRUST_200600_302600_NS11hip_rocprim14__parallel_for6kernelILj256EZNS1_16__set_operations9doit_stepILb0ENS0_6detail15normal_iteratorINS0_10device_ptrIKiEEEESB_PiSC_lNS7_INS8_IiEEEESC_NS0_4lessIiEENS4_16serial_set_unionEEE10hipError_tPvRmT0_T1_T2_T3_T4_SP_T5_T6_PSP_T7_T8_P12ihipStream_tbEUllE_jLj1EEEvSL_SM_SM_,comdat
	.protected	_ZN6thrust23THRUST_200600_302600_NS11hip_rocprim14__parallel_for6kernelILj256EZNS1_16__set_operations9doit_stepILb0ENS0_6detail15normal_iteratorINS0_10device_ptrIKiEEEESB_PiSC_lNS7_INS8_IiEEEESC_NS0_4lessIiEENS4_16serial_set_unionEEE10hipError_tPvRmT0_T1_T2_T3_T4_SP_T5_T6_PSP_T7_T8_P12ihipStream_tbEUllE_jLj1EEEvSL_SM_SM_ ; -- Begin function _ZN6thrust23THRUST_200600_302600_NS11hip_rocprim14__parallel_for6kernelILj256EZNS1_16__set_operations9doit_stepILb0ENS0_6detail15normal_iteratorINS0_10device_ptrIKiEEEESB_PiSC_lNS7_INS8_IiEEEESC_NS0_4lessIiEENS4_16serial_set_unionEEE10hipError_tPvRmT0_T1_T2_T3_T4_SP_T5_T6_PSP_T7_T8_P12ihipStream_tbEUllE_jLj1EEEvSL_SM_SM_
	.globl	_ZN6thrust23THRUST_200600_302600_NS11hip_rocprim14__parallel_for6kernelILj256EZNS1_16__set_operations9doit_stepILb0ENS0_6detail15normal_iteratorINS0_10device_ptrIKiEEEESB_PiSC_lNS7_INS8_IiEEEESC_NS0_4lessIiEENS4_16serial_set_unionEEE10hipError_tPvRmT0_T1_T2_T3_T4_SP_T5_T6_PSP_T7_T8_P12ihipStream_tbEUllE_jLj1EEEvSL_SM_SM_
	.p2align	8
	.type	_ZN6thrust23THRUST_200600_302600_NS11hip_rocprim14__parallel_for6kernelILj256EZNS1_16__set_operations9doit_stepILb0ENS0_6detail15normal_iteratorINS0_10device_ptrIKiEEEESB_PiSC_lNS7_INS8_IiEEEESC_NS0_4lessIiEENS4_16serial_set_unionEEE10hipError_tPvRmT0_T1_T2_T3_T4_SP_T5_T6_PSP_T7_T8_P12ihipStream_tbEUllE_jLj1EEEvSL_SM_SM_,@function
_ZN6thrust23THRUST_200600_302600_NS11hip_rocprim14__parallel_for6kernelILj256EZNS1_16__set_operations9doit_stepILb0ENS0_6detail15normal_iteratorINS0_10device_ptrIKiEEEESB_PiSC_lNS7_INS8_IiEEEESC_NS0_4lessIiEENS4_16serial_set_unionEEE10hipError_tPvRmT0_T1_T2_T3_T4_SP_T5_T6_PSP_T7_T8_P12ihipStream_tbEUllE_jLj1EEEvSL_SM_SM_: ; @_ZN6thrust23THRUST_200600_302600_NS11hip_rocprim14__parallel_for6kernelILj256EZNS1_16__set_operations9doit_stepILb0ENS0_6detail15normal_iteratorINS0_10device_ptrIKiEEEESB_PiSC_lNS7_INS8_IiEEEESC_NS0_4lessIiEENS4_16serial_set_unionEEE10hipError_tPvRmT0_T1_T2_T3_T4_SP_T5_T6_PSP_T7_T8_P12ihipStream_tbEUllE_jLj1EEEvSL_SM_SM_
; %bb.0:
	s_clause 0x2
	s_load_b64 s[12:13], s[0:1], 0x30
	s_load_b64 s[2:3], s[0:1], 0x20
	s_load_b256 s[4:11], s[0:1], 0x0
	s_lshl_b32 s1, s15, 8
	s_waitcnt lgkmcnt(0)
	s_add_i32 s1, s1, s13
	s_delay_alu instid0(SALU_CYCLE_1) | instskip(NEXT) | instid1(SALU_CYCLE_1)
	s_sub_i32 s0, s12, s1
	s_cmpk_lt_u32 s0, 0x100
	s_cbranch_scc0 .LBB20_12
; %bb.1:
	v_cmp_gt_u32_e32 vcc_lo, s0, v0
	s_mov_b32 s12, 0
	s_mov_b32 s0, 0
                                        ; implicit-def: $vgpr3_vgpr4
                                        ; implicit-def: $vgpr5_vgpr6
	s_and_saveexec_b32 s13, vcc_lo
	s_cbranch_execz .LBB20_13
; %bb.2:
	v_add_nc_u32_e32 v5, s1, v0
	s_add_u32 s14, s6, s4
	s_addc_u32 s15, s7, s5
	v_mov_b32_e32 v6, 0
	s_delay_alu instid0(VALU_DEP_2) | instskip(NEXT) | instid1(VALU_DEP_1)
	v_mad_u64_u32 v[1:2], null, 0xfff, v5, 0
	v_cmp_lt_i64_e32 vcc_lo, s[14:15], v[1:2]
	v_cndmask_b32_e64 v3, v1, s14, vcc_lo
	v_cndmask_b32_e64 v4, v2, s15, vcc_lo
	s_mov_b32 s14, 0
	s_delay_alu instid0(VALU_DEP_2) | instskip(NEXT) | instid1(VALU_DEP_2)
	v_sub_co_u32 v1, vcc_lo, v3, s6
	v_subrev_co_ci_u32_e32 v2, vcc_lo, s7, v4, vcc_lo
	v_cmp_lt_i64_e64 s0, s[4:5], v[3:4]
	s_delay_alu instid0(VALU_DEP_2) | instskip(NEXT) | instid1(VALU_DEP_2)
	v_cmp_lt_i64_e32 vcc_lo, 0, v[1:2]
	v_cndmask_b32_e64 v8, v4, s5, s0
	v_cndmask_b32_e64 v7, v3, s4, s0
	s_mov_b32 s0, exec_lo
	v_dual_cndmask_b32 v2, 0, v2 :: v_dual_cndmask_b32 v1, 0, v1
	s_delay_alu instid0(VALU_DEP_1)
	v_cmpx_lt_i64_e64 v[1:2], v[7:8]
	s_cbranch_execz .LBB20_6
; %bb.3:
	v_lshlrev_b64 v[9:10], 2, v[3:4]
	s_delay_alu instid0(VALU_DEP_1) | instskip(NEXT) | instid1(VALU_DEP_2)
	v_add_co_u32 v9, vcc_lo, s2, v9
	v_add_co_ci_u32_e32 v10, vcc_lo, s3, v10, vcc_lo
	s_set_inst_prefetch_distance 0x1
	.p2align	6
.LBB20_4:                               ; =>This Inner Loop Header: Depth=1
	v_add_co_u32 v11, vcc_lo, v7, v1
	v_add_co_ci_u32_e32 v12, vcc_lo, v8, v2, vcc_lo
	s_delay_alu instid0(VALU_DEP_1) | instskip(NEXT) | instid1(VALU_DEP_1)
	v_ashrrev_i64 v[11:12], 1, v[11:12]
	v_not_b32_e32 v14, v12
	s_delay_alu instid0(VALU_DEP_2) | instskip(SKIP_1) | instid1(VALU_DEP_2)
	v_not_b32_e32 v13, v11
	v_lshlrev_b64 v[15:16], 2, v[11:12]
	v_lshlrev_b64 v[13:14], 2, v[13:14]
	s_delay_alu instid0(VALU_DEP_2) | instskip(NEXT) | instid1(VALU_DEP_3)
	v_add_co_u32 v15, vcc_lo, s10, v15
	v_add_co_ci_u32_e32 v16, vcc_lo, s11, v16, vcc_lo
	s_delay_alu instid0(VALU_DEP_3) | instskip(NEXT) | instid1(VALU_DEP_4)
	v_add_co_u32 v13, vcc_lo, v9, v13
	v_add_co_ci_u32_e32 v14, vcc_lo, v10, v14, vcc_lo
	global_load_b32 v15, v[15:16], off
	global_load_b32 v13, v[13:14], off
	v_add_co_u32 v14, vcc_lo, v11, 1
	v_add_co_ci_u32_e32 v16, vcc_lo, 0, v12, vcc_lo
	s_waitcnt vmcnt(0)
	v_cmp_lt_i32_e32 vcc_lo, v13, v15
	v_dual_cndmask_b32 v8, v8, v12 :: v_dual_cndmask_b32 v7, v7, v11
	s_delay_alu instid0(VALU_DEP_3) | instskip(NEXT) | instid1(VALU_DEP_1)
	v_dual_cndmask_b32 v2, v16, v2 :: v_dual_cndmask_b32 v1, v14, v1
	v_cmp_ge_i64_e32 vcc_lo, v[1:2], v[7:8]
	s_or_b32 s14, vcc_lo, s14
	s_delay_alu instid0(SALU_CYCLE_1)
	s_and_not1_b32 exec_lo, exec_lo, s14
	s_cbranch_execnz .LBB20_4
; %bb.5:
	s_set_inst_prefetch_distance 0x2
	s_or_b32 exec_lo, exec_lo, s14
.LBB20_6:
	s_delay_alu instid0(SALU_CYCLE_1)
	s_or_b32 exec_lo, exec_lo, s0
	v_sub_co_u32 v11, vcc_lo, v3, v1
	v_mov_b32_e32 v9, 0
	v_sub_co_ci_u32_e32 v12, vcc_lo, v4, v2, vcc_lo
	v_mov_b32_e32 v10, 0
	s_mov_b32 s14, exec_lo
	s_delay_alu instid0(VALU_DEP_2)
	v_cmpx_gt_i64_e64 s[6:7], v[11:12]
	s_cbranch_execz .LBB20_38
; %bb.7:
	v_lshlrev_b64 v[7:8], 2, v[11:12]
	s_mov_b32 s0, exec_lo
	v_dual_mov_b32 v14, v2 :: v_dual_mov_b32 v13, v1
	s_delay_alu instid0(VALU_DEP_2) | instskip(NEXT) | instid1(VALU_DEP_3)
	v_add_co_u32 v9, vcc_lo, s2, v7
	v_add_co_ci_u32_e32 v10, vcc_lo, s3, v8, vcc_lo
	v_mov_b32_e32 v7, 0
	v_mov_b32_e32 v8, 0
	global_load_b32 v19, v[9:10], off
	v_cmpx_lt_i64_e32 0, v[1:2]
	s_cbranch_execnz .LBB20_14
; %bb.8:
	s_or_b32 exec_lo, exec_lo, s0
	s_delay_alu instid0(SALU_CYCLE_1)
	s_mov_b32 s0, exec_lo
	v_cmpx_lt_i64_e64 v[7:8], v[13:14]
	s_cbranch_execnz .LBB20_15
.LBB20_9:
	s_or_b32 exec_lo, exec_lo, s0
	s_delay_alu instid0(SALU_CYCLE_1)
	s_mov_b32 s0, exec_lo
	v_cmpx_lt_i64_e64 v[7:8], v[13:14]
	s_cbranch_execnz .LBB20_16
.LBB20_10:
	s_or_b32 exec_lo, exec_lo, s0
	s_delay_alu instid0(SALU_CYCLE_1)
	s_mov_b32 s0, exec_lo
	v_cmpx_lt_i64_e64 v[7:8], v[13:14]
	s_cbranch_execnz .LBB20_17
.LBB20_11:
	s_or_b32 exec_lo, exec_lo, s0
	s_delay_alu instid0(SALU_CYCLE_1)
	s_mov_b32 s0, exec_lo
	v_cmpx_lt_i64_e64 v[7:8], v[13:14]
	s_cbranch_execnz .LBB20_18
	s_branch .LBB20_21
.LBB20_12:
	s_mov_b32 s0, 0
                                        ; implicit-def: $vgpr3_vgpr4
                                        ; implicit-def: $vgpr5_vgpr6
	s_cbranch_execnz .LBB20_39
	s_branch .LBB20_74
.LBB20_13:
	s_or_b32 exec_lo, exec_lo, s13
	s_delay_alu instid0(SALU_CYCLE_1)
	s_and_b32 vcc_lo, exec_lo, s12
	s_cbranch_vccnz .LBB20_39
	s_branch .LBB20_74
.LBB20_14:
	v_mad_u64_u32 v[7:8], null, 0x1ff, v1, 0
	s_delay_alu instid0(VALU_DEP_1) | instskip(NEXT) | instid1(VALU_DEP_1)
	v_mad_u64_u32 v[13:14], null, 0x1ff, v2, v[8:9]
	v_mov_b32_e32 v8, v13
	s_delay_alu instid0(VALU_DEP_1) | instskip(NEXT) | instid1(VALU_DEP_1)
	v_lshrrev_b64 v[13:14], 9, v[7:8]
	v_lshlrev_b64 v[7:8], 2, v[13:14]
	s_delay_alu instid0(VALU_DEP_1) | instskip(NEXT) | instid1(VALU_DEP_2)
	v_add_co_u32 v7, vcc_lo, s10, v7
	v_add_co_ci_u32_e32 v8, vcc_lo, s11, v8, vcc_lo
	v_add_co_u32 v15, vcc_lo, v13, 1
	global_load_b32 v7, v[7:8], off
	v_add_co_ci_u32_e32 v8, vcc_lo, 0, v14, vcc_lo
	s_waitcnt vmcnt(0)
	v_cmp_lt_i32_e32 vcc_lo, v7, v19
	s_delay_alu instid0(VALU_DEP_2) | instskip(SKIP_2) | instid1(SALU_CYCLE_1)
	v_dual_cndmask_b32 v7, 0, v15 :: v_dual_cndmask_b32 v8, 0, v8
	v_dual_cndmask_b32 v13, v13, v1 :: v_dual_cndmask_b32 v14, v14, v2
	s_or_b32 exec_lo, exec_lo, s0
	s_mov_b32 s0, exec_lo
	s_delay_alu instid0(VALU_DEP_1)
	v_cmpx_lt_i64_e64 v[7:8], v[13:14]
	s_cbranch_execz .LBB20_9
.LBB20_15:
	v_mad_u64_u32 v[15:16], null, 0x7f, v13, v[7:8]
	s_delay_alu instid0(VALU_DEP_1) | instskip(NEXT) | instid1(VALU_DEP_1)
	v_mad_u64_u32 v[17:18], null, 0x7f, v14, v[16:17]
	v_mov_b32_e32 v16, v17
	s_delay_alu instid0(VALU_DEP_1) | instskip(NEXT) | instid1(VALU_DEP_1)
	v_lshrrev_b64 v[15:16], 7, v[15:16]
	v_lshlrev_b64 v[17:18], 2, v[15:16]
	s_delay_alu instid0(VALU_DEP_1) | instskip(NEXT) | instid1(VALU_DEP_2)
	v_add_co_u32 v17, vcc_lo, s10, v17
	v_add_co_ci_u32_e32 v18, vcc_lo, s11, v18, vcc_lo
	global_load_b32 v17, v[17:18], off
	v_add_co_u32 v18, vcc_lo, v15, 1
	v_add_co_ci_u32_e32 v20, vcc_lo, 0, v16, vcc_lo
	s_waitcnt vmcnt(0)
	v_cmp_lt_i32_e32 vcc_lo, v17, v19
	s_delay_alu instid0(VALU_DEP_2) | instskip(SKIP_2) | instid1(SALU_CYCLE_1)
	v_dual_cndmask_b32 v7, v7, v18 :: v_dual_cndmask_b32 v8, v8, v20
	v_dual_cndmask_b32 v13, v15, v13 :: v_dual_cndmask_b32 v14, v16, v14
	s_or_b32 exec_lo, exec_lo, s0
	s_mov_b32 s0, exec_lo
	s_delay_alu instid0(VALU_DEP_1)
	v_cmpx_lt_i64_e64 v[7:8], v[13:14]
	s_cbranch_execz .LBB20_10
.LBB20_16:
	v_mad_u64_u32 v[15:16], null, v13, 31, v[7:8]
	s_delay_alu instid0(VALU_DEP_1) | instskip(NEXT) | instid1(VALU_DEP_1)
	v_mad_u64_u32 v[17:18], null, v14, 31, v[16:17]
	v_mov_b32_e32 v16, v17
	s_delay_alu instid0(VALU_DEP_1) | instskip(NEXT) | instid1(VALU_DEP_1)
	v_lshrrev_b64 v[15:16], 5, v[15:16]
	v_lshlrev_b64 v[17:18], 2, v[15:16]
	s_delay_alu instid0(VALU_DEP_1) | instskip(NEXT) | instid1(VALU_DEP_2)
	v_add_co_u32 v17, vcc_lo, s10, v17
	v_add_co_ci_u32_e32 v18, vcc_lo, s11, v18, vcc_lo
	global_load_b32 v17, v[17:18], off
	v_add_co_u32 v18, vcc_lo, v15, 1
	v_add_co_ci_u32_e32 v20, vcc_lo, 0, v16, vcc_lo
	s_waitcnt vmcnt(0)
	v_cmp_lt_i32_e32 vcc_lo, v17, v19
	s_delay_alu instid0(VALU_DEP_2) | instskip(SKIP_2) | instid1(SALU_CYCLE_1)
	v_dual_cndmask_b32 v7, v7, v18 :: v_dual_cndmask_b32 v8, v8, v20
	v_dual_cndmask_b32 v13, v15, v13 :: v_dual_cndmask_b32 v14, v16, v14
	s_or_b32 exec_lo, exec_lo, s0
	s_mov_b32 s0, exec_lo
	s_delay_alu instid0(VALU_DEP_1)
	v_cmpx_lt_i64_e64 v[7:8], v[13:14]
	s_cbranch_execz .LBB20_11
.LBB20_17:
	v_mad_u64_u32 v[15:16], null, v13, 15, v[7:8]
	s_delay_alu instid0(VALU_DEP_1) | instskip(NEXT) | instid1(VALU_DEP_1)
	v_mad_u64_u32 v[17:18], null, v14, 15, v[16:17]
	v_mov_b32_e32 v16, v17
	s_delay_alu instid0(VALU_DEP_1) | instskip(NEXT) | instid1(VALU_DEP_1)
	v_lshrrev_b64 v[15:16], 4, v[15:16]
	v_lshlrev_b64 v[17:18], 2, v[15:16]
	s_delay_alu instid0(VALU_DEP_1) | instskip(NEXT) | instid1(VALU_DEP_2)
	v_add_co_u32 v17, vcc_lo, s10, v17
	v_add_co_ci_u32_e32 v18, vcc_lo, s11, v18, vcc_lo
	global_load_b32 v17, v[17:18], off
	v_add_co_u32 v18, vcc_lo, v15, 1
	v_add_co_ci_u32_e32 v20, vcc_lo, 0, v16, vcc_lo
	s_waitcnt vmcnt(0)
	v_cmp_lt_i32_e32 vcc_lo, v17, v19
	s_delay_alu instid0(VALU_DEP_2) | instskip(SKIP_2) | instid1(SALU_CYCLE_1)
	v_dual_cndmask_b32 v7, v7, v18 :: v_dual_cndmask_b32 v8, v8, v20
	v_dual_cndmask_b32 v13, v15, v13 :: v_dual_cndmask_b32 v14, v16, v14
	s_or_b32 exec_lo, exec_lo, s0
	s_mov_b32 s0, exec_lo
	s_delay_alu instid0(VALU_DEP_1)
	v_cmpx_lt_i64_e64 v[7:8], v[13:14]
	s_cbranch_execz .LBB20_21
.LBB20_18:
	s_mov_b32 s15, 0
	.p2align	6
.LBB20_19:                              ; =>This Inner Loop Header: Depth=1
	v_add_co_u32 v15, vcc_lo, v7, v13
	v_add_co_ci_u32_e32 v16, vcc_lo, v8, v14, vcc_lo
	s_delay_alu instid0(VALU_DEP_1) | instskip(NEXT) | instid1(VALU_DEP_1)
	v_ashrrev_i64 v[15:16], 1, v[15:16]
	v_lshlrev_b64 v[17:18], 2, v[15:16]
	s_delay_alu instid0(VALU_DEP_1) | instskip(NEXT) | instid1(VALU_DEP_2)
	v_add_co_u32 v17, vcc_lo, s10, v17
	v_add_co_ci_u32_e32 v18, vcc_lo, s11, v18, vcc_lo
	global_load_b32 v17, v[17:18], off
	v_add_co_u32 v18, vcc_lo, v15, 1
	v_add_co_ci_u32_e32 v20, vcc_lo, 0, v16, vcc_lo
	s_waitcnt vmcnt(0)
	v_cmp_lt_i32_e32 vcc_lo, v17, v19
	s_delay_alu instid0(VALU_DEP_2) | instskip(SKIP_1) | instid1(VALU_DEP_1)
	v_dual_cndmask_b32 v8, v8, v20 :: v_dual_cndmask_b32 v7, v7, v18
	v_dual_cndmask_b32 v14, v16, v14 :: v_dual_cndmask_b32 v13, v15, v13
	v_cmp_ge_i64_e32 vcc_lo, v[7:8], v[13:14]
	s_or_b32 s15, vcc_lo, s15
	s_delay_alu instid0(SALU_CYCLE_1)
	s_and_not1_b32 exec_lo, exec_lo, s15
	s_cbranch_execnz .LBB20_19
; %bb.20:
	s_or_b32 exec_lo, exec_lo, s15
.LBB20_21:
	s_delay_alu instid0(SALU_CYCLE_1)
	s_or_b32 exec_lo, exec_lo, s0
	v_dual_mov_b32 v13, 0 :: v_dual_mov_b32 v16, v12
	v_dual_mov_b32 v14, 0 :: v_dual_mov_b32 v15, v11
	s_mov_b32 s0, exec_lo
	v_cmpx_lt_i64_e32 0, v[11:12]
	s_cbranch_execnz .LBB20_26
; %bb.22:
	s_or_b32 exec_lo, exec_lo, s0
	s_delay_alu instid0(SALU_CYCLE_1)
	s_mov_b32 s0, exec_lo
	v_cmpx_lt_i64_e64 v[13:14], v[15:16]
	s_cbranch_execnz .LBB20_27
.LBB20_23:
	s_or_b32 exec_lo, exec_lo, s0
	s_delay_alu instid0(SALU_CYCLE_1)
	s_mov_b32 s0, exec_lo
	v_cmpx_lt_i64_e64 v[13:14], v[15:16]
	s_cbranch_execnz .LBB20_28
.LBB20_24:
	s_or_b32 exec_lo, exec_lo, s0
	s_delay_alu instid0(SALU_CYCLE_1)
	s_mov_b32 s0, exec_lo
	v_cmpx_lt_i64_e64 v[13:14], v[15:16]
	s_cbranch_execnz .LBB20_29
.LBB20_25:
	s_or_b32 exec_lo, exec_lo, s0
	s_delay_alu instid0(SALU_CYCLE_1)
	s_mov_b32 s0, exec_lo
	v_cmpx_lt_i64_e64 v[13:14], v[15:16]
	s_cbranch_execnz .LBB20_30
	s_branch .LBB20_33
.LBB20_26:
	v_mad_u64_u32 v[13:14], null, 0x1ff, v11, 0
	s_delay_alu instid0(VALU_DEP_1) | instskip(NEXT) | instid1(VALU_DEP_1)
	v_mad_u64_u32 v[15:16], null, 0x1ff, v12, v[14:15]
	v_mov_b32_e32 v14, v15
	s_delay_alu instid0(VALU_DEP_1) | instskip(NEXT) | instid1(VALU_DEP_1)
	v_lshrrev_b64 v[15:16], 9, v[13:14]
	v_lshlrev_b64 v[13:14], 2, v[15:16]
	s_delay_alu instid0(VALU_DEP_1) | instskip(NEXT) | instid1(VALU_DEP_2)
	v_add_co_u32 v13, vcc_lo, s2, v13
	v_add_co_ci_u32_e32 v14, vcc_lo, s3, v14, vcc_lo
	v_add_co_u32 v17, vcc_lo, v15, 1
	global_load_b32 v13, v[13:14], off
	v_add_co_ci_u32_e32 v14, vcc_lo, 0, v16, vcc_lo
	s_waitcnt vmcnt(0)
	v_cmp_lt_i32_e32 vcc_lo, v13, v19
	s_delay_alu instid0(VALU_DEP_2) | instskip(SKIP_2) | instid1(SALU_CYCLE_1)
	v_dual_cndmask_b32 v13, 0, v17 :: v_dual_cndmask_b32 v14, 0, v14
	v_dual_cndmask_b32 v15, v15, v11 :: v_dual_cndmask_b32 v16, v16, v12
	s_or_b32 exec_lo, exec_lo, s0
	s_mov_b32 s0, exec_lo
	s_delay_alu instid0(VALU_DEP_1)
	v_cmpx_lt_i64_e64 v[13:14], v[15:16]
	s_cbranch_execz .LBB20_23
.LBB20_27:
	v_mad_u64_u32 v[17:18], null, 0x7f, v15, v[13:14]
	s_waitcnt vmcnt(0)
	s_delay_alu instid0(VALU_DEP_1) | instskip(NEXT) | instid1(VALU_DEP_1)
	v_mad_u64_u32 v[20:21], null, 0x7f, v16, v[18:19]
	v_mov_b32_e32 v18, v20
	s_delay_alu instid0(VALU_DEP_1) | instskip(NEXT) | instid1(VALU_DEP_1)
	v_lshrrev_b64 v[17:18], 7, v[17:18]
	v_lshlrev_b64 v[20:21], 2, v[17:18]
	s_delay_alu instid0(VALU_DEP_1) | instskip(NEXT) | instid1(VALU_DEP_2)
	v_add_co_u32 v20, vcc_lo, s2, v20
	v_add_co_ci_u32_e32 v21, vcc_lo, s3, v21, vcc_lo
	global_load_b32 v20, v[20:21], off
	v_add_co_u32 v21, vcc_lo, v17, 1
	v_add_co_ci_u32_e32 v22, vcc_lo, 0, v18, vcc_lo
	s_waitcnt vmcnt(0)
	v_cmp_lt_i32_e32 vcc_lo, v20, v19
	s_delay_alu instid0(VALU_DEP_2) | instskip(SKIP_2) | instid1(SALU_CYCLE_1)
	v_dual_cndmask_b32 v13, v13, v21 :: v_dual_cndmask_b32 v14, v14, v22
	v_dual_cndmask_b32 v15, v17, v15 :: v_dual_cndmask_b32 v16, v18, v16
	s_or_b32 exec_lo, exec_lo, s0
	s_mov_b32 s0, exec_lo
	s_delay_alu instid0(VALU_DEP_1)
	v_cmpx_lt_i64_e64 v[13:14], v[15:16]
	s_cbranch_execz .LBB20_24
.LBB20_28:
	v_mad_u64_u32 v[17:18], null, v15, 31, v[13:14]
	s_waitcnt vmcnt(0)
	s_delay_alu instid0(VALU_DEP_1) | instskip(NEXT) | instid1(VALU_DEP_1)
	v_mad_u64_u32 v[20:21], null, v16, 31, v[18:19]
	v_mov_b32_e32 v18, v20
	s_delay_alu instid0(VALU_DEP_1) | instskip(NEXT) | instid1(VALU_DEP_1)
	v_lshrrev_b64 v[17:18], 5, v[17:18]
	v_lshlrev_b64 v[20:21], 2, v[17:18]
	s_delay_alu instid0(VALU_DEP_1) | instskip(NEXT) | instid1(VALU_DEP_2)
	v_add_co_u32 v20, vcc_lo, s2, v20
	v_add_co_ci_u32_e32 v21, vcc_lo, s3, v21, vcc_lo
	global_load_b32 v20, v[20:21], off
	v_add_co_u32 v21, vcc_lo, v17, 1
	v_add_co_ci_u32_e32 v22, vcc_lo, 0, v18, vcc_lo
	s_waitcnt vmcnt(0)
	v_cmp_lt_i32_e32 vcc_lo, v20, v19
	s_delay_alu instid0(VALU_DEP_2) | instskip(SKIP_2) | instid1(SALU_CYCLE_1)
	v_dual_cndmask_b32 v13, v13, v21 :: v_dual_cndmask_b32 v14, v14, v22
	v_dual_cndmask_b32 v15, v17, v15 :: v_dual_cndmask_b32 v16, v18, v16
	s_or_b32 exec_lo, exec_lo, s0
	s_mov_b32 s0, exec_lo
	s_delay_alu instid0(VALU_DEP_1)
	v_cmpx_lt_i64_e64 v[13:14], v[15:16]
	s_cbranch_execz .LBB20_25
.LBB20_29:
	v_mad_u64_u32 v[17:18], null, v15, 15, v[13:14]
	s_waitcnt vmcnt(0)
	s_delay_alu instid0(VALU_DEP_1) | instskip(NEXT) | instid1(VALU_DEP_1)
	v_mad_u64_u32 v[20:21], null, v16, 15, v[18:19]
	v_mov_b32_e32 v18, v20
	s_delay_alu instid0(VALU_DEP_1) | instskip(NEXT) | instid1(VALU_DEP_1)
	v_lshrrev_b64 v[17:18], 4, v[17:18]
	v_lshlrev_b64 v[20:21], 2, v[17:18]
	s_delay_alu instid0(VALU_DEP_1) | instskip(NEXT) | instid1(VALU_DEP_2)
	v_add_co_u32 v20, vcc_lo, s2, v20
	v_add_co_ci_u32_e32 v21, vcc_lo, s3, v21, vcc_lo
	global_load_b32 v20, v[20:21], off
	v_add_co_u32 v21, vcc_lo, v17, 1
	v_add_co_ci_u32_e32 v22, vcc_lo, 0, v18, vcc_lo
	s_waitcnt vmcnt(0)
	v_cmp_lt_i32_e32 vcc_lo, v20, v19
	s_delay_alu instid0(VALU_DEP_2) | instskip(SKIP_2) | instid1(SALU_CYCLE_1)
	v_dual_cndmask_b32 v13, v13, v21 :: v_dual_cndmask_b32 v14, v14, v22
	v_dual_cndmask_b32 v15, v17, v15 :: v_dual_cndmask_b32 v16, v18, v16
	s_or_b32 exec_lo, exec_lo, s0
	s_mov_b32 s0, exec_lo
	s_delay_alu instid0(VALU_DEP_1)
	v_cmpx_lt_i64_e64 v[13:14], v[15:16]
	s_cbranch_execz .LBB20_33
.LBB20_30:
	s_mov_b32 s15, 0
	.p2align	6
.LBB20_31:                              ; =>This Inner Loop Header: Depth=1
	v_add_co_u32 v17, vcc_lo, v13, v15
	v_add_co_ci_u32_e32 v18, vcc_lo, v14, v16, vcc_lo
	s_delay_alu instid0(VALU_DEP_1) | instskip(NEXT) | instid1(VALU_DEP_1)
	v_ashrrev_i64 v[17:18], 1, v[17:18]
	v_lshlrev_b64 v[20:21], 2, v[17:18]
	s_delay_alu instid0(VALU_DEP_1) | instskip(NEXT) | instid1(VALU_DEP_2)
	v_add_co_u32 v20, vcc_lo, s2, v20
	v_add_co_ci_u32_e32 v21, vcc_lo, s3, v21, vcc_lo
	global_load_b32 v20, v[20:21], off
	v_add_co_u32 v21, vcc_lo, v17, 1
	v_add_co_ci_u32_e32 v22, vcc_lo, 0, v18, vcc_lo
	s_waitcnt vmcnt(0)
	v_cmp_lt_i32_e32 vcc_lo, v20, v19
	s_delay_alu instid0(VALU_DEP_2) | instskip(SKIP_1) | instid1(VALU_DEP_1)
	v_dual_cndmask_b32 v14, v14, v22 :: v_dual_cndmask_b32 v13, v13, v21
	v_dual_cndmask_b32 v16, v18, v16 :: v_dual_cndmask_b32 v15, v17, v15
	v_cmp_ge_i64_e32 vcc_lo, v[13:14], v[15:16]
	s_or_b32 s15, vcc_lo, s15
	s_delay_alu instid0(SALU_CYCLE_1)
	s_and_not1_b32 exec_lo, exec_lo, s15
	s_cbranch_execnz .LBB20_31
; %bb.32:
	s_or_b32 exec_lo, exec_lo, s15
.LBB20_33:
	s_delay_alu instid0(SALU_CYCLE_1)
	s_or_b32 exec_lo, exec_lo, s0
	v_sub_co_u32 v1, vcc_lo, v1, v7
	v_sub_co_ci_u32_e32 v2, vcc_lo, v2, v8, vcc_lo
	v_sub_co_u32 v17, vcc_lo, v11, v13
	v_sub_co_ci_u32_e32 v18, vcc_lo, v12, v14, vcc_lo
	s_mov_b32 s0, exec_lo
	s_delay_alu instid0(VALU_DEP_2) | instskip(NEXT) | instid1(VALU_DEP_2)
	v_add_co_u32 v15, vcc_lo, v17, v1
	v_add_co_ci_u32_e32 v16, vcc_lo, v18, v2, vcc_lo
	s_delay_alu instid0(VALU_DEP_1) | instskip(NEXT) | instid1(VALU_DEP_1)
	v_ashrrev_i64 v[1:2], 1, v[15:16]
	v_cmp_gt_i64_e32 vcc_lo, v[1:2], v[17:18]
	v_dual_cndmask_b32 v2, v18, v2 :: v_dual_cndmask_b32 v1, v17, v1
	s_delay_alu instid0(VALU_DEP_1) | instskip(NEXT) | instid1(VALU_DEP_2)
	v_add_co_u32 v13, vcc_lo, v13, v1
	v_add_co_ci_u32_e32 v14, vcc_lo, v14, v2, vcc_lo
	s_delay_alu instid0(VALU_DEP_2) | instskip(NEXT) | instid1(VALU_DEP_2)
	v_add_co_u32 v13, vcc_lo, v13, 1
	v_add_co_ci_u32_e32 v14, vcc_lo, 0, v14, vcc_lo
	s_delay_alu instid0(VALU_DEP_1) | instskip(SKIP_2) | instid1(VALU_DEP_2)
	v_cmp_gt_i64_e32 vcc_lo, s[6:7], v[13:14]
	v_cndmask_b32_e32 v13, s6, v13, vcc_lo
	v_cndmask_b32_e32 v14, s7, v14, vcc_lo
	v_sub_co_u32 v13, vcc_lo, v13, v11
	s_delay_alu instid0(VALU_DEP_2) | instskip(SKIP_2) | instid1(VALU_DEP_3)
	v_sub_co_ci_u32_e32 v14, vcc_lo, v14, v12, vcc_lo
	v_mov_b32_e32 v11, 0
	v_mov_b32_e32 v12, 0
	v_cmpx_lt_i64_e32 0, v[13:14]
	s_cbranch_execz .LBB20_37
; %bb.34:
	v_mov_b32_e32 v11, 0
	v_mov_b32_e32 v12, 0
	s_mov_b32 s15, 0
	.p2align	6
.LBB20_35:                              ; =>This Inner Loop Header: Depth=1
	s_delay_alu instid0(VALU_DEP_2) | instskip(NEXT) | instid1(VALU_DEP_2)
	v_add_co_u32 v20, vcc_lo, v11, v13
	v_add_co_ci_u32_e32 v21, vcc_lo, v12, v14, vcc_lo
	s_delay_alu instid0(VALU_DEP_1) | instskip(NEXT) | instid1(VALU_DEP_1)
	v_ashrrev_i64 v[20:21], 1, v[20:21]
	v_lshlrev_b64 v[22:23], 2, v[20:21]
	s_delay_alu instid0(VALU_DEP_1) | instskip(NEXT) | instid1(VALU_DEP_2)
	v_add_co_u32 v22, vcc_lo, v9, v22
	v_add_co_ci_u32_e32 v23, vcc_lo, v10, v23, vcc_lo
	global_load_b32 v22, v[22:23], off
	v_add_co_u32 v23, vcc_lo, v20, 1
	v_add_co_ci_u32_e32 v24, vcc_lo, 0, v21, vcc_lo
	s_waitcnt vmcnt(0)
	v_cmp_gt_i32_e32 vcc_lo, v22, v19
	s_delay_alu instid0(VALU_DEP_2) | instskip(SKIP_1) | instid1(VALU_DEP_1)
	v_dual_cndmask_b32 v12, v24, v12 :: v_dual_cndmask_b32 v11, v23, v11
	v_dual_cndmask_b32 v14, v14, v21 :: v_dual_cndmask_b32 v13, v13, v20
	v_cmp_ge_i64_e32 vcc_lo, v[11:12], v[13:14]
	s_or_b32 s15, vcc_lo, s15
	s_delay_alu instid0(SALU_CYCLE_1)
	s_and_not1_b32 exec_lo, exec_lo, s15
	s_cbranch_execnz .LBB20_35
; %bb.36:
	s_or_b32 exec_lo, exec_lo, s15
	v_ashrrev_i32_e32 v12, 31, v11
.LBB20_37:
	s_or_b32 exec_lo, exec_lo, s0
	v_add_co_u32 v9, vcc_lo, v11, v17
	s_delay_alu instid0(VALU_DEP_2) | instskip(SKIP_1) | instid1(VALU_DEP_1)
	v_add_co_ci_u32_e32 v10, vcc_lo, v12, v18, vcc_lo
	s_mov_b32 s15, 0
	v_cmp_lt_i64_e32 vcc_lo, v[9:10], v[1:2]
	v_dual_cndmask_b32 v14, v2, v10 :: v_dual_cndmask_b32 v13, v1, v9
	s_delay_alu instid0(VALU_DEP_1) | instskip(NEXT) | instid1(VALU_DEP_2)
	v_sub_co_u32 v11, vcc_lo, v15, v13
	v_sub_co_ci_u32_e32 v12, vcc_lo, v16, v14, vcc_lo
	v_add_co_u32 v13, vcc_lo, v13, 1
	v_add_co_ci_u32_e32 v14, vcc_lo, 0, v14, vcc_lo
	v_cmp_lt_i64_e32 vcc_lo, v[1:2], v[9:10]
	v_mov_b32_e32 v10, s15
	s_delay_alu instid0(VALU_DEP_3) | instskip(NEXT) | instid1(VALU_DEP_1)
	v_cmp_eq_u64_e64 s0, v[11:12], v[13:14]
	s_and_b32 s0, s0, vcc_lo
	v_add_co_u32 v1, vcc_lo, v11, v7
	v_cndmask_b32_e64 v9, 0, 1, s0
	v_add_co_ci_u32_e32 v2, vcc_lo, v12, v8, vcc_lo
.LBB20_38:
	s_or_b32 exec_lo, exec_lo, s14
	s_delay_alu instid0(VALU_DEP_2) | instskip(SKIP_2) | instid1(VALU_DEP_2)
	v_add_co_u32 v3, vcc_lo, v9, v3
	v_add_co_ci_u32_e32 v4, vcc_lo, v10, v4, vcc_lo
	s_mov_b32 s0, exec_lo
	v_sub_co_u32 v3, vcc_lo, v3, v1
	s_delay_alu instid0(VALU_DEP_2) | instskip(SKIP_1) | instid1(SALU_CYCLE_1)
	v_sub_co_ci_u32_e32 v4, vcc_lo, v4, v2, vcc_lo
	s_or_b32 exec_lo, exec_lo, s13
	s_and_b32 vcc_lo, exec_lo, s12
	s_cbranch_vccz .LBB20_74
.LBB20_39:
	v_add_nc_u32_e32 v5, s1, v0
	s_add_u32 s0, s6, s4
	s_addc_u32 s1, s7, s5
	v_mov_b32_e32 v6, 0
	s_delay_alu instid0(VALU_DEP_2) | instskip(NEXT) | instid1(VALU_DEP_1)
	v_mad_u64_u32 v[0:1], null, 0xfff, v5, 0
	v_cmp_lt_i64_e32 vcc_lo, s[0:1], v[0:1]
	v_cndmask_b32_e64 v3, v0, s0, vcc_lo
	v_cndmask_b32_e64 v4, v1, s1, vcc_lo
	s_mov_b32 s1, 0
	s_delay_alu instid0(VALU_DEP_2) | instskip(NEXT) | instid1(VALU_DEP_2)
	v_sub_co_u32 v0, vcc_lo, v3, s6
	v_subrev_co_ci_u32_e32 v1, vcc_lo, s7, v4, vcc_lo
	v_cmp_lt_i64_e64 s0, s[4:5], v[3:4]
	s_delay_alu instid0(VALU_DEP_2) | instskip(NEXT) | instid1(VALU_DEP_2)
	v_cmp_lt_i64_e32 vcc_lo, 0, v[0:1]
	v_cndmask_b32_e64 v8, v4, s5, s0
	v_cndmask_b32_e64 v7, v3, s4, s0
	s_mov_b32 s0, exec_lo
	v_dual_cndmask_b32 v2, 0, v1 :: v_dual_cndmask_b32 v1, 0, v0
	s_delay_alu instid0(VALU_DEP_1)
	v_cmpx_lt_i64_e64 v[1:2], v[7:8]
	s_cbranch_execz .LBB20_43
; %bb.40:
	v_lshlrev_b64 v[9:10], 2, v[3:4]
	s_delay_alu instid0(VALU_DEP_1) | instskip(NEXT) | instid1(VALU_DEP_2)
	v_add_co_u32 v0, vcc_lo, s2, v9
	v_add_co_ci_u32_e32 v9, vcc_lo, s3, v10, vcc_lo
	s_set_inst_prefetch_distance 0x1
	.p2align	6
.LBB20_41:                              ; =>This Inner Loop Header: Depth=1
	v_add_co_u32 v10, vcc_lo, v7, v1
	v_add_co_ci_u32_e32 v11, vcc_lo, v8, v2, vcc_lo
	s_delay_alu instid0(VALU_DEP_1) | instskip(NEXT) | instid1(VALU_DEP_1)
	v_ashrrev_i64 v[10:11], 1, v[10:11]
	v_not_b32_e32 v13, v11
	s_delay_alu instid0(VALU_DEP_2) | instskip(SKIP_1) | instid1(VALU_DEP_2)
	v_not_b32_e32 v12, v10
	v_lshlrev_b64 v[14:15], 2, v[10:11]
	v_lshlrev_b64 v[12:13], 2, v[12:13]
	s_delay_alu instid0(VALU_DEP_2) | instskip(NEXT) | instid1(VALU_DEP_3)
	v_add_co_u32 v14, vcc_lo, s10, v14
	v_add_co_ci_u32_e32 v15, vcc_lo, s11, v15, vcc_lo
	s_delay_alu instid0(VALU_DEP_3) | instskip(NEXT) | instid1(VALU_DEP_4)
	v_add_co_u32 v12, vcc_lo, v0, v12
	v_add_co_ci_u32_e32 v13, vcc_lo, v9, v13, vcc_lo
	global_load_b32 v14, v[14:15], off
	global_load_b32 v12, v[12:13], off
	v_add_co_u32 v13, vcc_lo, v10, 1
	v_add_co_ci_u32_e32 v15, vcc_lo, 0, v11, vcc_lo
	s_waitcnt vmcnt(0)
	v_cmp_lt_i32_e32 vcc_lo, v12, v14
	v_dual_cndmask_b32 v8, v8, v11 :: v_dual_cndmask_b32 v7, v7, v10
	s_delay_alu instid0(VALU_DEP_3) | instskip(NEXT) | instid1(VALU_DEP_1)
	v_dual_cndmask_b32 v2, v15, v2 :: v_dual_cndmask_b32 v1, v13, v1
	v_cmp_ge_i64_e32 vcc_lo, v[1:2], v[7:8]
	s_or_b32 s1, vcc_lo, s1
	s_delay_alu instid0(SALU_CYCLE_1)
	s_and_not1_b32 exec_lo, exec_lo, s1
	s_cbranch_execnz .LBB20_41
; %bb.42:
	s_set_inst_prefetch_distance 0x2
	s_or_b32 exec_lo, exec_lo, s1
.LBB20_43:
	s_delay_alu instid0(SALU_CYCLE_1)
	s_or_b32 exec_lo, exec_lo, s0
	v_sub_co_u32 v11, vcc_lo, v3, v1
	v_mov_b32_e32 v9, 0
	v_sub_co_ci_u32_e32 v12, vcc_lo, v4, v2, vcc_lo
	v_mov_b32_e32 v10, 0
	s_mov_b32 s1, exec_lo
	s_delay_alu instid0(VALU_DEP_2)
	v_cmpx_gt_i64_e64 s[6:7], v[11:12]
	s_cbranch_execz .LBB20_73
; %bb.44:
	v_lshlrev_b64 v[7:8], 2, v[11:12]
	s_mov_b32 s0, exec_lo
	v_dual_mov_b32 v14, v2 :: v_dual_mov_b32 v13, v1
	s_delay_alu instid0(VALU_DEP_2) | instskip(NEXT) | instid1(VALU_DEP_3)
	v_add_co_u32 v9, vcc_lo, s2, v7
	v_add_co_ci_u32_e32 v10, vcc_lo, s3, v8, vcc_lo
	v_mov_b32_e32 v7, 0
	v_mov_b32_e32 v8, 0
	global_load_b32 v19, v[9:10], off
	v_cmpx_lt_i64_e32 0, v[1:2]
	s_cbranch_execnz .LBB20_49
; %bb.45:
	s_or_b32 exec_lo, exec_lo, s0
	s_delay_alu instid0(SALU_CYCLE_1)
	s_mov_b32 s0, exec_lo
	v_cmpx_lt_i64_e64 v[7:8], v[13:14]
	s_cbranch_execnz .LBB20_50
.LBB20_46:
	s_or_b32 exec_lo, exec_lo, s0
	s_delay_alu instid0(SALU_CYCLE_1)
	s_mov_b32 s0, exec_lo
	v_cmpx_lt_i64_e64 v[7:8], v[13:14]
	s_cbranch_execnz .LBB20_51
.LBB20_47:
	s_or_b32 exec_lo, exec_lo, s0
	s_delay_alu instid0(SALU_CYCLE_1)
	s_mov_b32 s0, exec_lo
	v_cmpx_lt_i64_e64 v[7:8], v[13:14]
	s_cbranch_execnz .LBB20_52
.LBB20_48:
	s_or_b32 exec_lo, exec_lo, s0
	s_delay_alu instid0(SALU_CYCLE_1)
	s_mov_b32 s0, exec_lo
	v_cmpx_lt_i64_e64 v[7:8], v[13:14]
	s_cbranch_execnz .LBB20_53
	s_branch .LBB20_56
.LBB20_49:
	v_mad_u64_u32 v[7:8], null, 0x1ff, v1, 0
	s_delay_alu instid0(VALU_DEP_1) | instskip(NEXT) | instid1(VALU_DEP_1)
	v_mov_b32_e32 v0, v8
	v_mad_u64_u32 v[13:14], null, 0x1ff, v2, v[0:1]
	s_delay_alu instid0(VALU_DEP_1) | instskip(NEXT) | instid1(VALU_DEP_1)
	v_mov_b32_e32 v8, v13
	v_lshrrev_b64 v[13:14], 9, v[7:8]
	s_delay_alu instid0(VALU_DEP_1) | instskip(NEXT) | instid1(VALU_DEP_1)
	v_lshlrev_b64 v[7:8], 2, v[13:14]
	v_add_co_u32 v7, vcc_lo, s10, v7
	s_delay_alu instid0(VALU_DEP_2)
	v_add_co_ci_u32_e32 v8, vcc_lo, s11, v8, vcc_lo
	global_load_b32 v0, v[7:8], off
	v_add_co_u32 v7, vcc_lo, v13, 1
	v_add_co_ci_u32_e32 v8, vcc_lo, 0, v14, vcc_lo
	s_waitcnt vmcnt(0)
	v_cmp_lt_i32_e32 vcc_lo, v0, v19
	s_delay_alu instid0(VALU_DEP_2) | instskip(SKIP_2) | instid1(SALU_CYCLE_1)
	v_dual_cndmask_b32 v7, 0, v7 :: v_dual_cndmask_b32 v8, 0, v8
	v_dual_cndmask_b32 v13, v13, v1 :: v_dual_cndmask_b32 v14, v14, v2
	s_or_b32 exec_lo, exec_lo, s0
	s_mov_b32 s0, exec_lo
	s_delay_alu instid0(VALU_DEP_1)
	v_cmpx_lt_i64_e64 v[7:8], v[13:14]
	s_cbranch_execz .LBB20_46
.LBB20_50:
	v_mad_u64_u32 v[15:16], null, 0x7f, v13, v[7:8]
	s_delay_alu instid0(VALU_DEP_1) | instskip(NEXT) | instid1(VALU_DEP_1)
	v_mov_b32_e32 v0, v16
	v_mad_u64_u32 v[16:17], null, 0x7f, v14, v[0:1]
	s_delay_alu instid0(VALU_DEP_1) | instskip(NEXT) | instid1(VALU_DEP_1)
	v_lshrrev_b64 v[15:16], 7, v[15:16]
	v_lshlrev_b64 v[17:18], 2, v[15:16]
	s_delay_alu instid0(VALU_DEP_1) | instskip(NEXT) | instid1(VALU_DEP_2)
	v_add_co_u32 v17, vcc_lo, s10, v17
	v_add_co_ci_u32_e32 v18, vcc_lo, s11, v18, vcc_lo
	global_load_b32 v0, v[17:18], off
	v_add_co_u32 v17, vcc_lo, v15, 1
	v_add_co_ci_u32_e32 v18, vcc_lo, 0, v16, vcc_lo
	s_waitcnt vmcnt(0)
	v_cmp_lt_i32_e32 vcc_lo, v0, v19
	s_delay_alu instid0(VALU_DEP_2) | instskip(SKIP_2) | instid1(SALU_CYCLE_1)
	v_dual_cndmask_b32 v7, v7, v17 :: v_dual_cndmask_b32 v8, v8, v18
	v_dual_cndmask_b32 v13, v15, v13 :: v_dual_cndmask_b32 v14, v16, v14
	s_or_b32 exec_lo, exec_lo, s0
	s_mov_b32 s0, exec_lo
	s_delay_alu instid0(VALU_DEP_1)
	v_cmpx_lt_i64_e64 v[7:8], v[13:14]
	s_cbranch_execz .LBB20_47
.LBB20_51:
	v_mad_u64_u32 v[15:16], null, v13, 31, v[7:8]
	s_delay_alu instid0(VALU_DEP_1) | instskip(NEXT) | instid1(VALU_DEP_1)
	v_mov_b32_e32 v0, v16
	v_mad_u64_u32 v[16:17], null, v14, 31, v[0:1]
	s_delay_alu instid0(VALU_DEP_1) | instskip(NEXT) | instid1(VALU_DEP_1)
	v_lshrrev_b64 v[15:16], 5, v[15:16]
	v_lshlrev_b64 v[17:18], 2, v[15:16]
	s_delay_alu instid0(VALU_DEP_1) | instskip(NEXT) | instid1(VALU_DEP_2)
	v_add_co_u32 v17, vcc_lo, s10, v17
	v_add_co_ci_u32_e32 v18, vcc_lo, s11, v18, vcc_lo
	global_load_b32 v0, v[17:18], off
	v_add_co_u32 v17, vcc_lo, v15, 1
	v_add_co_ci_u32_e32 v18, vcc_lo, 0, v16, vcc_lo
	s_waitcnt vmcnt(0)
	v_cmp_lt_i32_e32 vcc_lo, v0, v19
	s_delay_alu instid0(VALU_DEP_2) | instskip(SKIP_2) | instid1(SALU_CYCLE_1)
	v_dual_cndmask_b32 v7, v7, v17 :: v_dual_cndmask_b32 v8, v8, v18
	v_dual_cndmask_b32 v13, v15, v13 :: v_dual_cndmask_b32 v14, v16, v14
	s_or_b32 exec_lo, exec_lo, s0
	s_mov_b32 s0, exec_lo
	s_delay_alu instid0(VALU_DEP_1)
	v_cmpx_lt_i64_e64 v[7:8], v[13:14]
	s_cbranch_execz .LBB20_48
.LBB20_52:
	v_mad_u64_u32 v[15:16], null, v13, 15, v[7:8]
	s_delay_alu instid0(VALU_DEP_1) | instskip(NEXT) | instid1(VALU_DEP_1)
	v_mov_b32_e32 v0, v16
	v_mad_u64_u32 v[16:17], null, v14, 15, v[0:1]
	s_delay_alu instid0(VALU_DEP_1) | instskip(NEXT) | instid1(VALU_DEP_1)
	v_lshrrev_b64 v[15:16], 4, v[15:16]
	v_lshlrev_b64 v[17:18], 2, v[15:16]
	s_delay_alu instid0(VALU_DEP_1) | instskip(NEXT) | instid1(VALU_DEP_2)
	v_add_co_u32 v17, vcc_lo, s10, v17
	v_add_co_ci_u32_e32 v18, vcc_lo, s11, v18, vcc_lo
	global_load_b32 v0, v[17:18], off
	v_add_co_u32 v17, vcc_lo, v15, 1
	v_add_co_ci_u32_e32 v18, vcc_lo, 0, v16, vcc_lo
	s_waitcnt vmcnt(0)
	v_cmp_lt_i32_e32 vcc_lo, v0, v19
	s_delay_alu instid0(VALU_DEP_2) | instskip(SKIP_2) | instid1(SALU_CYCLE_1)
	v_dual_cndmask_b32 v7, v7, v17 :: v_dual_cndmask_b32 v8, v8, v18
	v_dual_cndmask_b32 v13, v15, v13 :: v_dual_cndmask_b32 v14, v16, v14
	s_or_b32 exec_lo, exec_lo, s0
	s_mov_b32 s0, exec_lo
	s_delay_alu instid0(VALU_DEP_1)
	v_cmpx_lt_i64_e64 v[7:8], v[13:14]
	s_cbranch_execz .LBB20_56
.LBB20_53:
	s_mov_b32 s4, 0
	.p2align	6
.LBB20_54:                              ; =>This Inner Loop Header: Depth=1
	v_add_co_u32 v15, vcc_lo, v7, v13
	v_add_co_ci_u32_e32 v16, vcc_lo, v8, v14, vcc_lo
	s_delay_alu instid0(VALU_DEP_1) | instskip(NEXT) | instid1(VALU_DEP_1)
	v_ashrrev_i64 v[15:16], 1, v[15:16]
	v_lshlrev_b64 v[17:18], 2, v[15:16]
	s_delay_alu instid0(VALU_DEP_1) | instskip(NEXT) | instid1(VALU_DEP_2)
	v_add_co_u32 v17, vcc_lo, s10, v17
	v_add_co_ci_u32_e32 v18, vcc_lo, s11, v18, vcc_lo
	global_load_b32 v0, v[17:18], off
	v_add_co_u32 v17, vcc_lo, v15, 1
	v_add_co_ci_u32_e32 v18, vcc_lo, 0, v16, vcc_lo
	s_waitcnt vmcnt(0)
	v_cmp_lt_i32_e32 vcc_lo, v0, v19
	s_delay_alu instid0(VALU_DEP_2) | instskip(SKIP_1) | instid1(VALU_DEP_1)
	v_dual_cndmask_b32 v8, v8, v18 :: v_dual_cndmask_b32 v7, v7, v17
	v_dual_cndmask_b32 v14, v16, v14 :: v_dual_cndmask_b32 v13, v15, v13
	v_cmp_ge_i64_e32 vcc_lo, v[7:8], v[13:14]
	s_or_b32 s4, vcc_lo, s4
	s_delay_alu instid0(SALU_CYCLE_1)
	s_and_not1_b32 exec_lo, exec_lo, s4
	s_cbranch_execnz .LBB20_54
; %bb.55:
	s_or_b32 exec_lo, exec_lo, s4
.LBB20_56:
	s_delay_alu instid0(SALU_CYCLE_1)
	s_or_b32 exec_lo, exec_lo, s0
	v_dual_mov_b32 v13, 0 :: v_dual_mov_b32 v16, v12
	v_dual_mov_b32 v14, 0 :: v_dual_mov_b32 v15, v11
	s_mov_b32 s0, exec_lo
	v_cmpx_lt_i64_e32 0, v[11:12]
	s_cbranch_execnz .LBB20_61
; %bb.57:
	s_or_b32 exec_lo, exec_lo, s0
	s_delay_alu instid0(SALU_CYCLE_1)
	s_mov_b32 s0, exec_lo
	v_cmpx_lt_i64_e64 v[13:14], v[15:16]
	s_cbranch_execnz .LBB20_62
.LBB20_58:
	s_or_b32 exec_lo, exec_lo, s0
	s_delay_alu instid0(SALU_CYCLE_1)
	s_mov_b32 s0, exec_lo
	v_cmpx_lt_i64_e64 v[13:14], v[15:16]
	s_cbranch_execnz .LBB20_63
.LBB20_59:
	s_or_b32 exec_lo, exec_lo, s0
	s_delay_alu instid0(SALU_CYCLE_1)
	s_mov_b32 s0, exec_lo
	v_cmpx_lt_i64_e64 v[13:14], v[15:16]
	s_cbranch_execnz .LBB20_64
.LBB20_60:
	s_or_b32 exec_lo, exec_lo, s0
	s_delay_alu instid0(SALU_CYCLE_1)
	s_mov_b32 s0, exec_lo
	v_cmpx_lt_i64_e64 v[13:14], v[15:16]
	s_cbranch_execnz .LBB20_65
	s_branch .LBB20_68
.LBB20_61:
	v_mad_u64_u32 v[13:14], null, 0x1ff, v11, 0
	s_delay_alu instid0(VALU_DEP_1) | instskip(NEXT) | instid1(VALU_DEP_1)
	v_mov_b32_e32 v0, v14
	v_mad_u64_u32 v[14:15], null, 0x1ff, v12, v[0:1]
	s_delay_alu instid0(VALU_DEP_1) | instskip(NEXT) | instid1(VALU_DEP_1)
	v_lshrrev_b64 v[15:16], 9, v[13:14]
	v_lshlrev_b64 v[13:14], 2, v[15:16]
	s_delay_alu instid0(VALU_DEP_1) | instskip(NEXT) | instid1(VALU_DEP_2)
	v_add_co_u32 v13, vcc_lo, s2, v13
	v_add_co_ci_u32_e32 v14, vcc_lo, s3, v14, vcc_lo
	global_load_b32 v0, v[13:14], off
	v_add_co_u32 v13, vcc_lo, v15, 1
	v_add_co_ci_u32_e32 v14, vcc_lo, 0, v16, vcc_lo
	s_waitcnt vmcnt(0)
	v_cmp_lt_i32_e32 vcc_lo, v0, v19
	s_delay_alu instid0(VALU_DEP_2) | instskip(SKIP_2) | instid1(SALU_CYCLE_1)
	v_dual_cndmask_b32 v13, 0, v13 :: v_dual_cndmask_b32 v14, 0, v14
	v_dual_cndmask_b32 v15, v15, v11 :: v_dual_cndmask_b32 v16, v16, v12
	s_or_b32 exec_lo, exec_lo, s0
	s_mov_b32 s0, exec_lo
	s_delay_alu instid0(VALU_DEP_1)
	v_cmpx_lt_i64_e64 v[13:14], v[15:16]
	s_cbranch_execz .LBB20_58
.LBB20_62:
	v_mad_u64_u32 v[17:18], null, 0x7f, v15, v[13:14]
	s_delay_alu instid0(VALU_DEP_1) | instskip(NEXT) | instid1(VALU_DEP_1)
	v_mov_b32_e32 v0, v18
	v_mad_u64_u32 v[20:21], null, 0x7f, v16, v[0:1]
	s_delay_alu instid0(VALU_DEP_1) | instskip(NEXT) | instid1(VALU_DEP_1)
	v_mov_b32_e32 v18, v20
	v_lshrrev_b64 v[17:18], 7, v[17:18]
	s_delay_alu instid0(VALU_DEP_1) | instskip(NEXT) | instid1(VALU_DEP_1)
	v_lshlrev_b64 v[20:21], 2, v[17:18]
	v_add_co_u32 v20, vcc_lo, s2, v20
	s_delay_alu instid0(VALU_DEP_2)
	v_add_co_ci_u32_e32 v21, vcc_lo, s3, v21, vcc_lo
	global_load_b32 v0, v[20:21], off
	v_add_co_u32 v20, vcc_lo, v17, 1
	v_add_co_ci_u32_e32 v21, vcc_lo, 0, v18, vcc_lo
	s_waitcnt vmcnt(0)
	v_cmp_lt_i32_e32 vcc_lo, v0, v19
	s_delay_alu instid0(VALU_DEP_2) | instskip(SKIP_3) | instid1(SALU_CYCLE_1)
	v_dual_cndmask_b32 v15, v17, v15 :: v_dual_cndmask_b32 v14, v14, v21
	v_cndmask_b32_e32 v13, v13, v20, vcc_lo
	v_cndmask_b32_e32 v16, v18, v16, vcc_lo
	s_or_b32 exec_lo, exec_lo, s0
	s_mov_b32 s0, exec_lo
	s_delay_alu instid0(VALU_DEP_1)
	v_cmpx_lt_i64_e64 v[13:14], v[15:16]
	s_cbranch_execz .LBB20_59
.LBB20_63:
	v_mad_u64_u32 v[17:18], null, v15, 31, v[13:14]
	s_delay_alu instid0(VALU_DEP_1) | instskip(NEXT) | instid1(VALU_DEP_1)
	v_mov_b32_e32 v0, v18
	v_mad_u64_u32 v[20:21], null, v16, 31, v[0:1]
	s_delay_alu instid0(VALU_DEP_1) | instskip(NEXT) | instid1(VALU_DEP_1)
	v_mov_b32_e32 v18, v20
	v_lshrrev_b64 v[17:18], 5, v[17:18]
	s_delay_alu instid0(VALU_DEP_1) | instskip(NEXT) | instid1(VALU_DEP_1)
	v_lshlrev_b64 v[20:21], 2, v[17:18]
	v_add_co_u32 v20, vcc_lo, s2, v20
	s_delay_alu instid0(VALU_DEP_2)
	v_add_co_ci_u32_e32 v21, vcc_lo, s3, v21, vcc_lo
	global_load_b32 v0, v[20:21], off
	v_add_co_u32 v20, vcc_lo, v17, 1
	v_add_co_ci_u32_e32 v21, vcc_lo, 0, v18, vcc_lo
	s_waitcnt vmcnt(0)
	v_cmp_lt_i32_e32 vcc_lo, v0, v19
	s_delay_alu instid0(VALU_DEP_2) | instskip(SKIP_3) | instid1(SALU_CYCLE_1)
	v_dual_cndmask_b32 v15, v17, v15 :: v_dual_cndmask_b32 v14, v14, v21
	v_cndmask_b32_e32 v13, v13, v20, vcc_lo
	v_cndmask_b32_e32 v16, v18, v16, vcc_lo
	s_or_b32 exec_lo, exec_lo, s0
	s_mov_b32 s0, exec_lo
	s_delay_alu instid0(VALU_DEP_1)
	v_cmpx_lt_i64_e64 v[13:14], v[15:16]
	s_cbranch_execz .LBB20_60
.LBB20_64:
	v_mad_u64_u32 v[17:18], null, v15, 15, v[13:14]
	s_delay_alu instid0(VALU_DEP_1) | instskip(NEXT) | instid1(VALU_DEP_1)
	v_mov_b32_e32 v0, v18
	v_mad_u64_u32 v[20:21], null, v16, 15, v[0:1]
	s_delay_alu instid0(VALU_DEP_1) | instskip(NEXT) | instid1(VALU_DEP_1)
	v_mov_b32_e32 v18, v20
	v_lshrrev_b64 v[17:18], 4, v[17:18]
	s_delay_alu instid0(VALU_DEP_1) | instskip(NEXT) | instid1(VALU_DEP_1)
	v_lshlrev_b64 v[20:21], 2, v[17:18]
	v_add_co_u32 v20, vcc_lo, s2, v20
	s_delay_alu instid0(VALU_DEP_2)
	v_add_co_ci_u32_e32 v21, vcc_lo, s3, v21, vcc_lo
	global_load_b32 v0, v[20:21], off
	v_add_co_u32 v20, vcc_lo, v17, 1
	v_add_co_ci_u32_e32 v21, vcc_lo, 0, v18, vcc_lo
	s_waitcnt vmcnt(0)
	v_cmp_lt_i32_e32 vcc_lo, v0, v19
	s_delay_alu instid0(VALU_DEP_2) | instskip(SKIP_3) | instid1(SALU_CYCLE_1)
	v_dual_cndmask_b32 v15, v17, v15 :: v_dual_cndmask_b32 v14, v14, v21
	v_cndmask_b32_e32 v13, v13, v20, vcc_lo
	v_cndmask_b32_e32 v16, v18, v16, vcc_lo
	s_or_b32 exec_lo, exec_lo, s0
	s_mov_b32 s0, exec_lo
	s_delay_alu instid0(VALU_DEP_1)
	v_cmpx_lt_i64_e64 v[13:14], v[15:16]
	s_cbranch_execz .LBB20_68
.LBB20_65:
	s_mov_b32 s4, 0
	.p2align	6
.LBB20_66:                              ; =>This Inner Loop Header: Depth=1
	v_add_co_u32 v17, vcc_lo, v13, v15
	v_add_co_ci_u32_e32 v18, vcc_lo, v14, v16, vcc_lo
	s_delay_alu instid0(VALU_DEP_1) | instskip(NEXT) | instid1(VALU_DEP_1)
	v_ashrrev_i64 v[17:18], 1, v[17:18]
	v_lshlrev_b64 v[20:21], 2, v[17:18]
	s_delay_alu instid0(VALU_DEP_1) | instskip(NEXT) | instid1(VALU_DEP_2)
	v_add_co_u32 v20, vcc_lo, s2, v20
	v_add_co_ci_u32_e32 v21, vcc_lo, s3, v21, vcc_lo
	global_load_b32 v0, v[20:21], off
	v_add_co_u32 v20, vcc_lo, v17, 1
	v_add_co_ci_u32_e32 v21, vcc_lo, 0, v18, vcc_lo
	s_waitcnt vmcnt(0)
	v_cmp_lt_i32_e32 vcc_lo, v0, v19
	s_delay_alu instid0(VALU_DEP_2) | instskip(SKIP_1) | instid1(VALU_DEP_1)
	v_dual_cndmask_b32 v14, v14, v21 :: v_dual_cndmask_b32 v13, v13, v20
	v_dual_cndmask_b32 v16, v18, v16 :: v_dual_cndmask_b32 v15, v17, v15
	v_cmp_ge_i64_e32 vcc_lo, v[13:14], v[15:16]
	s_or_b32 s4, vcc_lo, s4
	s_delay_alu instid0(SALU_CYCLE_1)
	s_and_not1_b32 exec_lo, exec_lo, s4
	s_cbranch_execnz .LBB20_66
; %bb.67:
	s_or_b32 exec_lo, exec_lo, s4
.LBB20_68:
	s_delay_alu instid0(SALU_CYCLE_1)
	s_or_b32 exec_lo, exec_lo, s0
	v_sub_co_u32 v0, vcc_lo, v1, v7
	v_sub_co_ci_u32_e32 v1, vcc_lo, v2, v8, vcc_lo
	v_sub_co_u32 v17, vcc_lo, v11, v13
	v_sub_co_ci_u32_e32 v18, vcc_lo, v12, v14, vcc_lo
	s_mov_b32 s0, exec_lo
	s_delay_alu instid0(VALU_DEP_2) | instskip(NEXT) | instid1(VALU_DEP_2)
	v_add_co_u32 v15, vcc_lo, v17, v0
	v_add_co_ci_u32_e32 v16, vcc_lo, v18, v1, vcc_lo
	s_delay_alu instid0(VALU_DEP_1) | instskip(NEXT) | instid1(VALU_DEP_1)
	v_ashrrev_i64 v[0:1], 1, v[15:16]
	v_cmp_gt_i64_e32 vcc_lo, v[0:1], v[17:18]
	v_dual_cndmask_b32 v1, v18, v1 :: v_dual_cndmask_b32 v0, v17, v0
	s_delay_alu instid0(VALU_DEP_1) | instskip(NEXT) | instid1(VALU_DEP_2)
	v_add_co_u32 v2, vcc_lo, v13, v0
	v_add_co_ci_u32_e32 v14, vcc_lo, v14, v1, vcc_lo
	s_delay_alu instid0(VALU_DEP_2) | instskip(NEXT) | instid1(VALU_DEP_2)
	v_add_co_u32 v13, vcc_lo, v2, 1
	v_add_co_ci_u32_e32 v14, vcc_lo, 0, v14, vcc_lo
	s_delay_alu instid0(VALU_DEP_1) | instskip(SKIP_2) | instid1(VALU_DEP_2)
	v_cmp_gt_i64_e32 vcc_lo, s[6:7], v[13:14]
	v_cndmask_b32_e32 v13, s6, v13, vcc_lo
	v_cndmask_b32_e32 v2, s7, v14, vcc_lo
	v_sub_co_u32 v13, vcc_lo, v13, v11
	s_delay_alu instid0(VALU_DEP_2) | instskip(SKIP_2) | instid1(VALU_DEP_3)
	v_sub_co_ci_u32_e32 v14, vcc_lo, v2, v12, vcc_lo
	v_mov_b32_e32 v11, 0
	v_mov_b32_e32 v12, 0
	v_cmpx_lt_i64_e32 0, v[13:14]
	s_cbranch_execz .LBB20_72
; %bb.69:
	v_mov_b32_e32 v11, 0
	v_mov_b32_e32 v12, 0
	s_mov_b32 s2, 0
	.p2align	6
.LBB20_70:                              ; =>This Inner Loop Header: Depth=1
	s_delay_alu instid0(VALU_DEP_2) | instskip(NEXT) | instid1(VALU_DEP_2)
	v_add_co_u32 v20, vcc_lo, v11, v13
	v_add_co_ci_u32_e32 v21, vcc_lo, v12, v14, vcc_lo
	s_delay_alu instid0(VALU_DEP_1) | instskip(NEXT) | instid1(VALU_DEP_1)
	v_ashrrev_i64 v[20:21], 1, v[20:21]
	v_lshlrev_b64 v[22:23], 2, v[20:21]
	s_delay_alu instid0(VALU_DEP_1) | instskip(NEXT) | instid1(VALU_DEP_2)
	v_add_co_u32 v22, vcc_lo, v9, v22
	v_add_co_ci_u32_e32 v23, vcc_lo, v10, v23, vcc_lo
	global_load_b32 v2, v[22:23], off
	v_add_co_u32 v22, vcc_lo, v20, 1
	v_add_co_ci_u32_e32 v23, vcc_lo, 0, v21, vcc_lo
	s_waitcnt vmcnt(0)
	v_cmp_gt_i32_e32 vcc_lo, v2, v19
	s_delay_alu instid0(VALU_DEP_2) | instskip(SKIP_1) | instid1(VALU_DEP_1)
	v_dual_cndmask_b32 v12, v23, v12 :: v_dual_cndmask_b32 v11, v22, v11
	v_dual_cndmask_b32 v14, v14, v21 :: v_dual_cndmask_b32 v13, v13, v20
	v_cmp_ge_i64_e32 vcc_lo, v[11:12], v[13:14]
	s_or_b32 s2, vcc_lo, s2
	s_delay_alu instid0(SALU_CYCLE_1)
	s_and_not1_b32 exec_lo, exec_lo, s2
	s_cbranch_execnz .LBB20_70
; %bb.71:
	s_or_b32 exec_lo, exec_lo, s2
	v_ashrrev_i32_e32 v12, 31, v11
.LBB20_72:
	s_or_b32 exec_lo, exec_lo, s0
	v_add_co_u32 v9, vcc_lo, v11, v17
	s_delay_alu instid0(VALU_DEP_2) | instskip(SKIP_1) | instid1(VALU_DEP_1)
	v_add_co_ci_u32_e32 v10, vcc_lo, v12, v18, vcc_lo
	s_mov_b32 s2, 0
	v_cmp_lt_i64_e32 vcc_lo, v[9:10], v[0:1]
	v_dual_cndmask_b32 v2, v1, v10 :: v_dual_cndmask_b32 v13, v0, v9
	s_delay_alu instid0(VALU_DEP_1) | instskip(NEXT) | instid1(VALU_DEP_2)
	v_sub_co_u32 v11, vcc_lo, v15, v13
	v_sub_co_ci_u32_e32 v12, vcc_lo, v16, v2, vcc_lo
	v_add_co_u32 v13, vcc_lo, v13, 1
	v_add_co_ci_u32_e32 v14, vcc_lo, 0, v2, vcc_lo
	v_cmp_lt_i64_e32 vcc_lo, v[0:1], v[9:10]
	v_mov_b32_e32 v10, s2
	s_delay_alu instid0(VALU_DEP_3) | instskip(NEXT) | instid1(VALU_DEP_1)
	v_cmp_eq_u64_e64 s0, v[11:12], v[13:14]
	s_and_b32 s0, s0, vcc_lo
	v_add_co_u32 v1, vcc_lo, v11, v7
	v_cndmask_b32_e64 v9, 0, 1, s0
	v_add_co_ci_u32_e32 v2, vcc_lo, v12, v8, vcc_lo
.LBB20_73:
	s_or_b32 exec_lo, exec_lo, s1
	s_delay_alu instid0(VALU_DEP_2) | instskip(SKIP_2) | instid1(VALU_DEP_2)
	v_add_co_u32 v0, vcc_lo, v9, v3
	v_add_co_ci_u32_e32 v4, vcc_lo, v10, v4, vcc_lo
	s_mov_b32 s0, -1
	v_sub_co_u32 v3, vcc_lo, v0, v1
	s_delay_alu instid0(VALU_DEP_2)
	v_sub_co_ci_u32_e32 v4, vcc_lo, v4, v2, vcc_lo
.LBB20_74:
	s_and_saveexec_b32 s1, s0
	s_cbranch_execnz .LBB20_76
; %bb.75:
	s_endpgm
.LBB20_76:
	v_lshlrev_b64 v[5:6], 4, v[5:6]
	s_delay_alu instid0(VALU_DEP_1) | instskip(NEXT) | instid1(VALU_DEP_2)
	v_add_co_u32 v5, vcc_lo, s8, v5
	v_add_co_ci_u32_e32 v6, vcc_lo, s9, v6, vcc_lo
	global_store_b128 v[5:6], v[1:4], off
	s_nop 0
	s_sendmsg sendmsg(MSG_DEALLOC_VGPRS)
	s_endpgm
	.section	.rodata,"a",@progbits
	.p2align	6, 0x0
	.amdhsa_kernel _ZN6thrust23THRUST_200600_302600_NS11hip_rocprim14__parallel_for6kernelILj256EZNS1_16__set_operations9doit_stepILb0ENS0_6detail15normal_iteratorINS0_10device_ptrIKiEEEESB_PiSC_lNS7_INS8_IiEEEESC_NS0_4lessIiEENS4_16serial_set_unionEEE10hipError_tPvRmT0_T1_T2_T3_T4_SP_T5_T6_PSP_T7_T8_P12ihipStream_tbEUllE_jLj1EEEvSL_SM_SM_
		.amdhsa_group_segment_fixed_size 0
		.amdhsa_private_segment_fixed_size 0
		.amdhsa_kernarg_size 56
		.amdhsa_user_sgpr_count 15
		.amdhsa_user_sgpr_dispatch_ptr 0
		.amdhsa_user_sgpr_queue_ptr 0
		.amdhsa_user_sgpr_kernarg_segment_ptr 1
		.amdhsa_user_sgpr_dispatch_id 0
		.amdhsa_user_sgpr_private_segment_size 0
		.amdhsa_wavefront_size32 1
		.amdhsa_uses_dynamic_stack 0
		.amdhsa_enable_private_segment 0
		.amdhsa_system_sgpr_workgroup_id_x 1
		.amdhsa_system_sgpr_workgroup_id_y 0
		.amdhsa_system_sgpr_workgroup_id_z 0
		.amdhsa_system_sgpr_workgroup_info 0
		.amdhsa_system_vgpr_workitem_id 0
		.amdhsa_next_free_vgpr 25
		.amdhsa_next_free_sgpr 16
		.amdhsa_reserve_vcc 1
		.amdhsa_float_round_mode_32 0
		.amdhsa_float_round_mode_16_64 0
		.amdhsa_float_denorm_mode_32 3
		.amdhsa_float_denorm_mode_16_64 3
		.amdhsa_dx10_clamp 1
		.amdhsa_ieee_mode 1
		.amdhsa_fp16_overflow 0
		.amdhsa_workgroup_processor_mode 1
		.amdhsa_memory_ordered 1
		.amdhsa_forward_progress 0
		.amdhsa_shared_vgpr_count 0
		.amdhsa_exception_fp_ieee_invalid_op 0
		.amdhsa_exception_fp_denorm_src 0
		.amdhsa_exception_fp_ieee_div_zero 0
		.amdhsa_exception_fp_ieee_overflow 0
		.amdhsa_exception_fp_ieee_underflow 0
		.amdhsa_exception_fp_ieee_inexact 0
		.amdhsa_exception_int_div_zero 0
	.end_amdhsa_kernel
	.section	.text._ZN6thrust23THRUST_200600_302600_NS11hip_rocprim14__parallel_for6kernelILj256EZNS1_16__set_operations9doit_stepILb0ENS0_6detail15normal_iteratorINS0_10device_ptrIKiEEEESB_PiSC_lNS7_INS8_IiEEEESC_NS0_4lessIiEENS4_16serial_set_unionEEE10hipError_tPvRmT0_T1_T2_T3_T4_SP_T5_T6_PSP_T7_T8_P12ihipStream_tbEUllE_jLj1EEEvSL_SM_SM_,"axG",@progbits,_ZN6thrust23THRUST_200600_302600_NS11hip_rocprim14__parallel_for6kernelILj256EZNS1_16__set_operations9doit_stepILb0ENS0_6detail15normal_iteratorINS0_10device_ptrIKiEEEESB_PiSC_lNS7_INS8_IiEEEESC_NS0_4lessIiEENS4_16serial_set_unionEEE10hipError_tPvRmT0_T1_T2_T3_T4_SP_T5_T6_PSP_T7_T8_P12ihipStream_tbEUllE_jLj1EEEvSL_SM_SM_,comdat
.Lfunc_end20:
	.size	_ZN6thrust23THRUST_200600_302600_NS11hip_rocprim14__parallel_for6kernelILj256EZNS1_16__set_operations9doit_stepILb0ENS0_6detail15normal_iteratorINS0_10device_ptrIKiEEEESB_PiSC_lNS7_INS8_IiEEEESC_NS0_4lessIiEENS4_16serial_set_unionEEE10hipError_tPvRmT0_T1_T2_T3_T4_SP_T5_T6_PSP_T7_T8_P12ihipStream_tbEUllE_jLj1EEEvSL_SM_SM_, .Lfunc_end20-_ZN6thrust23THRUST_200600_302600_NS11hip_rocprim14__parallel_for6kernelILj256EZNS1_16__set_operations9doit_stepILb0ENS0_6detail15normal_iteratorINS0_10device_ptrIKiEEEESB_PiSC_lNS7_INS8_IiEEEESC_NS0_4lessIiEENS4_16serial_set_unionEEE10hipError_tPvRmT0_T1_T2_T3_T4_SP_T5_T6_PSP_T7_T8_P12ihipStream_tbEUllE_jLj1EEEvSL_SM_SM_
                                        ; -- End function
	.section	.AMDGPU.csdata,"",@progbits
; Kernel info:
; codeLenInByte = 5124
; NumSgprs: 18
; NumVgprs: 25
; ScratchSize: 0
; MemoryBound: 0
; FloatMode: 240
; IeeeMode: 1
; LDSByteSize: 0 bytes/workgroup (compile time only)
; SGPRBlocks: 2
; VGPRBlocks: 3
; NumSGPRsForWavesPerEU: 18
; NumVGPRsForWavesPerEU: 25
; Occupancy: 16
; WaveLimiterHint : 0
; COMPUTE_PGM_RSRC2:SCRATCH_EN: 0
; COMPUTE_PGM_RSRC2:USER_SGPR: 15
; COMPUTE_PGM_RSRC2:TRAP_HANDLER: 0
; COMPUTE_PGM_RSRC2:TGID_X_EN: 1
; COMPUTE_PGM_RSRC2:TGID_Y_EN: 0
; COMPUTE_PGM_RSRC2:TGID_Z_EN: 0
; COMPUTE_PGM_RSRC2:TIDIG_COMP_CNT: 0
	.section	.text._ZN6thrust23THRUST_200600_302600_NS11hip_rocprim16__set_operations22lookback_set_op_kernelIN7rocprim17ROCPRIM_400000_NS13kernel_configILj256ELj16ELj4294967295EEELb0ENS0_6detail15normal_iteratorINS0_10device_ptrIKiEEEESD_PiSE_lNS9_INSA_IiEEEESE_NS0_4lessIiEENS2_16serial_set_unionENS5_6detail19lookback_scan_stateIlLb0ELb1EEEEEvT1_T2_T3_T4_T6_T7_T8_T9_PNS0_4pairIT5_SW_EEPSW_T10_NSK_16ordered_block_idIjEE,"axG",@progbits,_ZN6thrust23THRUST_200600_302600_NS11hip_rocprim16__set_operations22lookback_set_op_kernelIN7rocprim17ROCPRIM_400000_NS13kernel_configILj256ELj16ELj4294967295EEELb0ENS0_6detail15normal_iteratorINS0_10device_ptrIKiEEEESD_PiSE_lNS9_INSA_IiEEEESE_NS0_4lessIiEENS2_16serial_set_unionENS5_6detail19lookback_scan_stateIlLb0ELb1EEEEEvT1_T2_T3_T4_T6_T7_T8_T9_PNS0_4pairIT5_SW_EEPSW_T10_NSK_16ordered_block_idIjEE,comdat
	.protected	_ZN6thrust23THRUST_200600_302600_NS11hip_rocprim16__set_operations22lookback_set_op_kernelIN7rocprim17ROCPRIM_400000_NS13kernel_configILj256ELj16ELj4294967295EEELb0ENS0_6detail15normal_iteratorINS0_10device_ptrIKiEEEESD_PiSE_lNS9_INSA_IiEEEESE_NS0_4lessIiEENS2_16serial_set_unionENS5_6detail19lookback_scan_stateIlLb0ELb1EEEEEvT1_T2_T3_T4_T6_T7_T8_T9_PNS0_4pairIT5_SW_EEPSW_T10_NSK_16ordered_block_idIjEE ; -- Begin function _ZN6thrust23THRUST_200600_302600_NS11hip_rocprim16__set_operations22lookback_set_op_kernelIN7rocprim17ROCPRIM_400000_NS13kernel_configILj256ELj16ELj4294967295EEELb0ENS0_6detail15normal_iteratorINS0_10device_ptrIKiEEEESD_PiSE_lNS9_INSA_IiEEEESE_NS0_4lessIiEENS2_16serial_set_unionENS5_6detail19lookback_scan_stateIlLb0ELb1EEEEEvT1_T2_T3_T4_T6_T7_T8_T9_PNS0_4pairIT5_SW_EEPSW_T10_NSK_16ordered_block_idIjEE
	.globl	_ZN6thrust23THRUST_200600_302600_NS11hip_rocprim16__set_operations22lookback_set_op_kernelIN7rocprim17ROCPRIM_400000_NS13kernel_configILj256ELj16ELj4294967295EEELb0ENS0_6detail15normal_iteratorINS0_10device_ptrIKiEEEESD_PiSE_lNS9_INSA_IiEEEESE_NS0_4lessIiEENS2_16serial_set_unionENS5_6detail19lookback_scan_stateIlLb0ELb1EEEEEvT1_T2_T3_T4_T6_T7_T8_T9_PNS0_4pairIT5_SW_EEPSW_T10_NSK_16ordered_block_idIjEE
	.p2align	8
	.type	_ZN6thrust23THRUST_200600_302600_NS11hip_rocprim16__set_operations22lookback_set_op_kernelIN7rocprim17ROCPRIM_400000_NS13kernel_configILj256ELj16ELj4294967295EEELb0ENS0_6detail15normal_iteratorINS0_10device_ptrIKiEEEESD_PiSE_lNS9_INSA_IiEEEESE_NS0_4lessIiEENS2_16serial_set_unionENS5_6detail19lookback_scan_stateIlLb0ELb1EEEEEvT1_T2_T3_T4_T6_T7_T8_T9_PNS0_4pairIT5_SW_EEPSW_T10_NSK_16ordered_block_idIjEE,@function
_ZN6thrust23THRUST_200600_302600_NS11hip_rocprim16__set_operations22lookback_set_op_kernelIN7rocprim17ROCPRIM_400000_NS13kernel_configILj256ELj16ELj4294967295EEELb0ENS0_6detail15normal_iteratorINS0_10device_ptrIKiEEEESD_PiSE_lNS9_INSA_IiEEEESE_NS0_4lessIiEENS2_16serial_set_unionENS5_6detail19lookback_scan_stateIlLb0ELb1EEEEEvT1_T2_T3_T4_T6_T7_T8_T9_PNS0_4pairIT5_SW_EEPSW_T10_NSK_16ordered_block_idIjEE: ; @_ZN6thrust23THRUST_200600_302600_NS11hip_rocprim16__set_operations22lookback_set_op_kernelIN7rocprim17ROCPRIM_400000_NS13kernel_configILj256ELj16ELj4294967295EEELb0ENS0_6detail15normal_iteratorINS0_10device_ptrIKiEEEESD_PiSE_lNS9_INSA_IiEEEESE_NS0_4lessIiEENS2_16serial_set_unionENS5_6detail19lookback_scan_stateIlLb0ELb1EEEEEvT1_T2_T3_T4_T6_T7_T8_T9_PNS0_4pairIT5_SW_EEPSW_T10_NSK_16ordered_block_idIjEE
; %bb.0:
	s_clause 0x2
	s_load_b32 s3, s[0:1], 0x64
	s_load_b32 s2, s[0:1], 0x58
	s_load_b256 s[24:31], s[0:1], 0x38
	v_bfe_u32 v1, v0, 10, 10
	v_bfe_u32 v2, v0, 20, 10
	v_and_b32_e32 v16, 0x3ff, v0
	s_waitcnt lgkmcnt(0)
	s_lshr_b32 s4, s3, 16
	s_and_b32 s3, s3, 0xffff
	v_mad_u32_u24 v1, v2, s4, v1
	s_delay_alu instid0(VALU_DEP_1) | instskip(SKIP_2) | instid1(VALU_DEP_1)
	v_mul_lo_u32 v0, v1, s3
	v_sub_nc_u32_e32 v1, 0, v16
	s_mov_b32 s3, exec_lo
	v_cmpx_eq_u32_e64 v0, v1
	s_cbranch_execz .LBB21_4
; %bb.1:
	s_mov_b32 s5, exec_lo
	s_mov_b32 s4, exec_lo
	v_mbcnt_lo_u32_b32 v0, s5, 0
                                        ; implicit-def: $vgpr1
	s_delay_alu instid0(VALU_DEP_1)
	v_cmpx_eq_u32_e32 0, v0
	s_cbranch_execz .LBB21_3
; %bb.2:
	s_bcnt1_i32_b32 s5, s5
	s_delay_alu instid0(SALU_CYCLE_1)
	v_dual_mov_b32 v1, 0 :: v_dual_mov_b32 v2, s5
	global_atomic_add_u32 v1, v1, v2, s[30:31] glc
.LBB21_3:
	s_or_b32 exec_lo, exec_lo, s4
	s_waitcnt vmcnt(0)
	v_readfirstlane_b32 s4, v1
	s_delay_alu instid0(VALU_DEP_1)
	v_dual_mov_b32 v1, 0 :: v_dual_add_nc_u32 v0, s4, v0
	ds_store_b32 v1, v0 offset:36864
.LBB21_4:
	s_or_b32 exec_lo, exec_lo, s3
	v_mov_b32_e32 v4, 0
	s_waitcnt lgkmcnt(0)
	s_barrier
	buffer_gl0_inv
	s_add_i32 s8, s2, -1
	ds_load_b32 v8, v4 offset:36864
	s_waitcnt lgkmcnt(0)
	v_readfirstlane_b32 s30, v8
	v_cmp_le_i32_e32 vcc_lo, s8, v8
	s_delay_alu instid0(VALU_DEP_2) | instskip(NEXT) | instid1(SALU_CYCLE_1)
	s_ashr_i32 s31, s30, 31
	s_lshl_b64 s[4:5], s[30:31], 4
	s_delay_alu instid0(SALU_CYCLE_1)
	s_add_u32 s2, s24, s4
	s_addc_u32 s3, s25, s5
	s_clause 0x1
	s_load_b128 s[4:7], s[0:1], 0x0
	s_load_b64 s[24:25], s[0:1], 0x20
	s_clause 0x1
	global_load_b128 v[0:3], v4, s[2:3]
	global_load_b128 v[4:7], v4, s[2:3] offset:16
	s_and_b32 vcc_lo, exec_lo, vcc_lo
	s_waitcnt vmcnt(1)
	v_readfirstlane_b32 s2, v0
	s_waitcnt vmcnt(0)
	v_sub_nc_u32_e32 v17, v6, v2
	v_lshlrev_b64 v[2:3], 2, v[2:3]
	v_readfirstlane_b32 s1, v4
	v_mov_b32_e32 v0, s2
	s_delay_alu instid0(VALU_DEP_2) | instskip(NEXT) | instid1(VALU_DEP_1)
	s_sub_i32 s23, s1, s2
	v_lshlrev_b64 v[0:1], 2, v[0:1]
	s_waitcnt lgkmcnt(0)
	s_delay_alu instid0(VALU_DEP_1) | instskip(NEXT) | instid1(VALU_DEP_1)
	v_add_co_u32 v20, s0, s4, v0
	v_add_co_ci_u32_e64 v21, s0, s5, v1, s0
	v_add_co_u32 v18, s0, s6, v2
	s_delay_alu instid0(VALU_DEP_1)
	v_add_co_ci_u32_e64 v19, s0, s7, v3, s0
	s_mov_b32 s0, -1
	s_cbranch_vccz .LBB21_250
; %bb.5:
	v_add_nc_u32_e32 v23, s23, v17
	s_mov_b32 s0, exec_lo
                                        ; implicit-def: $vgpr0_vgpr1_vgpr2_vgpr3_vgpr4_vgpr5_vgpr6_vgpr7_vgpr8_vgpr9_vgpr10_vgpr11_vgpr12_vgpr13_vgpr14_vgpr15
	s_delay_alu instid0(VALU_DEP_1)
	v_cmpx_lt_i32_e64 v16, v23
	s_cbranch_execz .LBB21_7
; %bb.6:
	v_subrev_nc_u32_e32 v0, s23, v16
	v_lshlrev_b32_e32 v2, 2, v16
	s_delay_alu instid0(VALU_DEP_2) | instskip(NEXT) | instid1(VALU_DEP_2)
	v_ashrrev_i32_e32 v1, 31, v0
	v_add_co_u32 v2, vcc_lo, v20, v2
	v_add_co_ci_u32_e32 v3, vcc_lo, 0, v21, vcc_lo
	s_delay_alu instid0(VALU_DEP_3) | instskip(NEXT) | instid1(VALU_DEP_1)
	v_lshlrev_b64 v[0:1], 2, v[0:1]
	v_add_co_u32 v0, vcc_lo, v18, v0
	s_delay_alu instid0(VALU_DEP_2) | instskip(SKIP_1) | instid1(VALU_DEP_2)
	v_add_co_ci_u32_e32 v1, vcc_lo, v19, v1, vcc_lo
	v_cmp_gt_i32_e32 vcc_lo, s23, v16
	v_dual_cndmask_b32 v1, v1, v3 :: v_dual_cndmask_b32 v0, v0, v2
	global_load_b32 v0, v[0:1], off
.LBB21_7:
	s_or_b32 exec_lo, exec_lo, s0
	v_add_nc_u32_e32 v22, 0x100, v16
	s_mov_b32 s0, exec_lo
	s_delay_alu instid0(VALU_DEP_1)
	v_cmpx_lt_i32_e64 v22, v23
	s_cbranch_execz .LBB21_9
; %bb.8:
	s_ashr_i32 s1, s23, 31
	v_sub_co_u32 v24, s2, v16, s23
	s_delay_alu instid0(VALU_DEP_1) | instskip(SKIP_1) | instid1(VALU_DEP_2)
	v_sub_co_ci_u32_e64 v25, null, 0, s1, s2
	v_lshlrev_b32_e32 v1, 2, v16
	v_lshlrev_b64 v[24:25], 2, v[24:25]
	s_delay_alu instid0(VALU_DEP_2) | instskip(SKIP_1) | instid1(VALU_DEP_3)
	v_add_co_u32 v1, vcc_lo, v20, v1
	v_add_co_ci_u32_e32 v26, vcc_lo, 0, v21, vcc_lo
	v_add_co_u32 v24, vcc_lo, v18, v24
	s_delay_alu instid0(VALU_DEP_4) | instskip(SKIP_1) | instid1(VALU_DEP_2)
	v_add_co_ci_u32_e32 v25, vcc_lo, v19, v25, vcc_lo
	v_cmp_gt_i32_e32 vcc_lo, s23, v22
	v_dual_cndmask_b32 v25, v25, v26 :: v_dual_cndmask_b32 v24, v24, v1
	global_load_b32 v1, v[24:25], off offset:1024
.LBB21_9:
	s_or_b32 exec_lo, exec_lo, s0
	v_add_nc_u32_e32 v22, 0x200, v16
	s_mov_b32 s0, exec_lo
	s_delay_alu instid0(VALU_DEP_1)
	v_cmpx_lt_i32_e64 v22, v23
	s_cbranch_execz .LBB21_11
; %bb.10:
	s_ashr_i32 s1, s23, 31
	v_sub_co_u32 v24, s2, v16, s23
	s_delay_alu instid0(VALU_DEP_1) | instskip(SKIP_1) | instid1(VALU_DEP_2)
	v_sub_co_ci_u32_e64 v25, null, 0, s1, s2
	v_lshlrev_b32_e32 v2, 2, v16
	v_lshlrev_b64 v[24:25], 2, v[24:25]
	s_delay_alu instid0(VALU_DEP_2) | instskip(SKIP_1) | instid1(VALU_DEP_3)
	v_add_co_u32 v2, vcc_lo, v20, v2
	v_add_co_ci_u32_e32 v26, vcc_lo, 0, v21, vcc_lo
	v_add_co_u32 v24, vcc_lo, v18, v24
	s_delay_alu instid0(VALU_DEP_4) | instskip(SKIP_1) | instid1(VALU_DEP_2)
	v_add_co_ci_u32_e32 v25, vcc_lo, v19, v25, vcc_lo
	v_cmp_gt_i32_e32 vcc_lo, s23, v22
	v_cndmask_b32_e32 v25, v25, v26, vcc_lo
	s_delay_alu instid0(VALU_DEP_4)
	v_cndmask_b32_e32 v24, v24, v2, vcc_lo
	global_load_b32 v2, v[24:25], off offset:2048
.LBB21_11:
	s_or_b32 exec_lo, exec_lo, s0
	v_add_nc_u32_e32 v22, 0x300, v16
	s_mov_b32 s0, exec_lo
	s_delay_alu instid0(VALU_DEP_1)
	v_cmpx_lt_i32_e64 v22, v23
	s_cbranch_execz .LBB21_13
; %bb.12:
	s_ashr_i32 s1, s23, 31
	v_sub_co_u32 v24, s2, v16, s23
	s_delay_alu instid0(VALU_DEP_1) | instskip(SKIP_1) | instid1(VALU_DEP_2)
	v_sub_co_ci_u32_e64 v25, null, 0, s1, s2
	v_lshlrev_b32_e32 v3, 2, v16
	v_lshlrev_b64 v[24:25], 2, v[24:25]
	s_delay_alu instid0(VALU_DEP_2) | instskip(SKIP_1) | instid1(VALU_DEP_3)
	v_add_co_u32 v3, vcc_lo, v20, v3
	v_add_co_ci_u32_e32 v26, vcc_lo, 0, v21, vcc_lo
	v_add_co_u32 v24, vcc_lo, v18, v24
	s_delay_alu instid0(VALU_DEP_4) | instskip(SKIP_1) | instid1(VALU_DEP_2)
	v_add_co_ci_u32_e32 v25, vcc_lo, v19, v25, vcc_lo
	v_cmp_gt_i32_e32 vcc_lo, s23, v22
	v_dual_cndmask_b32 v25, v25, v26 :: v_dual_cndmask_b32 v24, v24, v3
	global_load_b32 v3, v[24:25], off offset:3072
.LBB21_13:
	s_or_b32 exec_lo, exec_lo, s0
	v_or_b32_e32 v22, 0x400, v16
	s_mov_b32 s0, exec_lo
	s_delay_alu instid0(VALU_DEP_1)
	v_cmpx_lt_i32_e64 v22, v23
	s_cbranch_execz .LBB21_15
; %bb.14:
	v_subrev_nc_u32_e32 v24, s23, v22
	v_lshlrev_b32_e32 v4, 2, v22
	s_delay_alu instid0(VALU_DEP_2) | instskip(NEXT) | instid1(VALU_DEP_2)
	v_ashrrev_i32_e32 v25, 31, v24
	v_add_co_u32 v4, vcc_lo, v20, v4
	v_add_co_ci_u32_e32 v26, vcc_lo, 0, v21, vcc_lo
	s_delay_alu instid0(VALU_DEP_3) | instskip(NEXT) | instid1(VALU_DEP_1)
	v_lshlrev_b64 v[24:25], 2, v[24:25]
	v_add_co_u32 v24, vcc_lo, v18, v24
	s_delay_alu instid0(VALU_DEP_2) | instskip(SKIP_1) | instid1(VALU_DEP_2)
	v_add_co_ci_u32_e32 v25, vcc_lo, v19, v25, vcc_lo
	v_cmp_gt_i32_e32 vcc_lo, s23, v22
	v_dual_cndmask_b32 v25, v25, v26 :: v_dual_cndmask_b32 v24, v24, v4
	global_load_b32 v4, v[24:25], off
.LBB21_15:
	s_or_b32 exec_lo, exec_lo, s0
	v_add_nc_u32_e32 v22, 0x500, v16
	s_mov_b32 s0, exec_lo
	s_delay_alu instid0(VALU_DEP_1)
	v_cmpx_lt_i32_e64 v22, v23
	s_cbranch_execz .LBB21_17
; %bb.16:
	v_subrev_nc_u32_e32 v24, s23, v22
	v_lshlrev_b32_e32 v5, 2, v22
	s_delay_alu instid0(VALU_DEP_2) | instskip(NEXT) | instid1(VALU_DEP_2)
	v_ashrrev_i32_e32 v25, 31, v24
	v_add_co_u32 v5, vcc_lo, v20, v5
	v_add_co_ci_u32_e32 v26, vcc_lo, 0, v21, vcc_lo
	s_delay_alu instid0(VALU_DEP_3) | instskip(NEXT) | instid1(VALU_DEP_1)
	v_lshlrev_b64 v[24:25], 2, v[24:25]
	v_add_co_u32 v24, vcc_lo, v18, v24
	s_delay_alu instid0(VALU_DEP_2) | instskip(SKIP_1) | instid1(VALU_DEP_2)
	v_add_co_ci_u32_e32 v25, vcc_lo, v19, v25, vcc_lo
	v_cmp_gt_i32_e32 vcc_lo, s23, v22
	v_dual_cndmask_b32 v25, v25, v26 :: v_dual_cndmask_b32 v24, v24, v5
	global_load_b32 v5, v[24:25], off
.LBB21_17:
	s_or_b32 exec_lo, exec_lo, s0
	v_add_nc_u32_e32 v22, 0x600, v16
	s_mov_b32 s0, exec_lo
	s_delay_alu instid0(VALU_DEP_1)
	v_cmpx_lt_i32_e64 v22, v23
	s_cbranch_execz .LBB21_19
; %bb.18:
	v_subrev_nc_u32_e32 v24, s23, v22
	v_lshlrev_b32_e32 v6, 2, v22
	s_delay_alu instid0(VALU_DEP_2) | instskip(NEXT) | instid1(VALU_DEP_2)
	v_ashrrev_i32_e32 v25, 31, v24
	v_add_co_u32 v6, vcc_lo, v20, v6
	v_add_co_ci_u32_e32 v26, vcc_lo, 0, v21, vcc_lo
	s_delay_alu instid0(VALU_DEP_3) | instskip(NEXT) | instid1(VALU_DEP_1)
	v_lshlrev_b64 v[24:25], 2, v[24:25]
	v_add_co_u32 v24, vcc_lo, v18, v24
	s_delay_alu instid0(VALU_DEP_2) | instskip(SKIP_1) | instid1(VALU_DEP_2)
	v_add_co_ci_u32_e32 v25, vcc_lo, v19, v25, vcc_lo
	v_cmp_gt_i32_e32 vcc_lo, s23, v22
	v_cndmask_b32_e32 v25, v25, v26, vcc_lo
	s_delay_alu instid0(VALU_DEP_4)
	v_cndmask_b32_e32 v24, v24, v6, vcc_lo
	global_load_b32 v6, v[24:25], off
.LBB21_19:
	s_or_b32 exec_lo, exec_lo, s0
	v_add_nc_u32_e32 v22, 0x700, v16
	s_mov_b32 s0, exec_lo
	s_delay_alu instid0(VALU_DEP_1)
	v_cmpx_lt_i32_e64 v22, v23
	s_cbranch_execz .LBB21_21
; %bb.20:
	v_subrev_nc_u32_e32 v24, s23, v22
	v_lshlrev_b32_e32 v7, 2, v22
	s_delay_alu instid0(VALU_DEP_2) | instskip(NEXT) | instid1(VALU_DEP_2)
	v_ashrrev_i32_e32 v25, 31, v24
	v_add_co_u32 v7, vcc_lo, v20, v7
	v_add_co_ci_u32_e32 v26, vcc_lo, 0, v21, vcc_lo
	s_delay_alu instid0(VALU_DEP_3) | instskip(NEXT) | instid1(VALU_DEP_1)
	v_lshlrev_b64 v[24:25], 2, v[24:25]
	v_add_co_u32 v24, vcc_lo, v18, v24
	s_delay_alu instid0(VALU_DEP_2) | instskip(SKIP_1) | instid1(VALU_DEP_2)
	v_add_co_ci_u32_e32 v25, vcc_lo, v19, v25, vcc_lo
	v_cmp_gt_i32_e32 vcc_lo, s23, v22
	v_dual_cndmask_b32 v25, v25, v26 :: v_dual_cndmask_b32 v24, v24, v7
	global_load_b32 v7, v[24:25], off
.LBB21_21:
	s_or_b32 exec_lo, exec_lo, s0
	v_or_b32_e32 v22, 0x800, v16
	s_mov_b32 s0, exec_lo
	s_delay_alu instid0(VALU_DEP_1)
	v_cmpx_lt_i32_e64 v22, v23
	s_cbranch_execz .LBB21_23
; %bb.22:
	v_subrev_nc_u32_e32 v24, s23, v22
	v_lshlrev_b32_e32 v8, 2, v22
	s_delay_alu instid0(VALU_DEP_2) | instskip(NEXT) | instid1(VALU_DEP_2)
	v_ashrrev_i32_e32 v25, 31, v24
	v_add_co_u32 v8, vcc_lo, v20, v8
	v_add_co_ci_u32_e32 v26, vcc_lo, 0, v21, vcc_lo
	s_delay_alu instid0(VALU_DEP_3) | instskip(NEXT) | instid1(VALU_DEP_1)
	v_lshlrev_b64 v[24:25], 2, v[24:25]
	v_add_co_u32 v24, vcc_lo, v18, v24
	s_delay_alu instid0(VALU_DEP_2) | instskip(SKIP_1) | instid1(VALU_DEP_2)
	v_add_co_ci_u32_e32 v25, vcc_lo, v19, v25, vcc_lo
	v_cmp_gt_i32_e32 vcc_lo, s23, v22
	v_dual_cndmask_b32 v25, v25, v26 :: v_dual_cndmask_b32 v24, v24, v8
	global_load_b32 v8, v[24:25], off
.LBB21_23:
	s_or_b32 exec_lo, exec_lo, s0
	v_add_nc_u32_e32 v22, 0x900, v16
	s_mov_b32 s0, exec_lo
	s_delay_alu instid0(VALU_DEP_1)
	v_cmpx_lt_i32_e64 v22, v23
	s_cbranch_execz .LBB21_25
; %bb.24:
	v_subrev_nc_u32_e32 v24, s23, v22
	v_lshlrev_b32_e32 v9, 2, v22
	s_delay_alu instid0(VALU_DEP_2) | instskip(NEXT) | instid1(VALU_DEP_2)
	v_ashrrev_i32_e32 v25, 31, v24
	v_add_co_u32 v9, vcc_lo, v20, v9
	v_add_co_ci_u32_e32 v26, vcc_lo, 0, v21, vcc_lo
	s_delay_alu instid0(VALU_DEP_3) | instskip(NEXT) | instid1(VALU_DEP_1)
	v_lshlrev_b64 v[24:25], 2, v[24:25]
	v_add_co_u32 v24, vcc_lo, v18, v24
	s_delay_alu instid0(VALU_DEP_2) | instskip(SKIP_1) | instid1(VALU_DEP_2)
	v_add_co_ci_u32_e32 v25, vcc_lo, v19, v25, vcc_lo
	v_cmp_gt_i32_e32 vcc_lo, s23, v22
	v_dual_cndmask_b32 v25, v25, v26 :: v_dual_cndmask_b32 v24, v24, v9
	global_load_b32 v9, v[24:25], off
.LBB21_25:
	s_or_b32 exec_lo, exec_lo, s0
	v_add_nc_u32_e32 v22, 0xa00, v16
	s_mov_b32 s0, exec_lo
	s_delay_alu instid0(VALU_DEP_1)
	v_cmpx_lt_i32_e64 v22, v23
	s_cbranch_execz .LBB21_27
; %bb.26:
	v_subrev_nc_u32_e32 v24, s23, v22
	v_lshlrev_b32_e32 v10, 2, v22
	s_delay_alu instid0(VALU_DEP_2) | instskip(NEXT) | instid1(VALU_DEP_2)
	v_ashrrev_i32_e32 v25, 31, v24
	v_add_co_u32 v10, vcc_lo, v20, v10
	v_add_co_ci_u32_e32 v26, vcc_lo, 0, v21, vcc_lo
	s_delay_alu instid0(VALU_DEP_3) | instskip(NEXT) | instid1(VALU_DEP_1)
	v_lshlrev_b64 v[24:25], 2, v[24:25]
	v_add_co_u32 v24, vcc_lo, v18, v24
	s_delay_alu instid0(VALU_DEP_2) | instskip(SKIP_1) | instid1(VALU_DEP_2)
	v_add_co_ci_u32_e32 v25, vcc_lo, v19, v25, vcc_lo
	v_cmp_gt_i32_e32 vcc_lo, s23, v22
	v_cndmask_b32_e32 v25, v25, v26, vcc_lo
	s_delay_alu instid0(VALU_DEP_4)
	v_cndmask_b32_e32 v24, v24, v10, vcc_lo
	global_load_b32 v10, v[24:25], off
.LBB21_27:
	s_or_b32 exec_lo, exec_lo, s0
	v_add_nc_u32_e32 v22, 0xb00, v16
	s_mov_b32 s0, exec_lo
	s_delay_alu instid0(VALU_DEP_1)
	v_cmpx_lt_i32_e64 v22, v23
	s_cbranch_execz .LBB21_29
; %bb.28:
	v_subrev_nc_u32_e32 v24, s23, v22
	v_lshlrev_b32_e32 v11, 2, v22
	s_delay_alu instid0(VALU_DEP_2) | instskip(NEXT) | instid1(VALU_DEP_2)
	v_ashrrev_i32_e32 v25, 31, v24
	v_add_co_u32 v11, vcc_lo, v20, v11
	v_add_co_ci_u32_e32 v26, vcc_lo, 0, v21, vcc_lo
	s_delay_alu instid0(VALU_DEP_3) | instskip(NEXT) | instid1(VALU_DEP_1)
	v_lshlrev_b64 v[24:25], 2, v[24:25]
	v_add_co_u32 v24, vcc_lo, v18, v24
	s_delay_alu instid0(VALU_DEP_2) | instskip(SKIP_1) | instid1(VALU_DEP_2)
	v_add_co_ci_u32_e32 v25, vcc_lo, v19, v25, vcc_lo
	v_cmp_gt_i32_e32 vcc_lo, s23, v22
	v_dual_cndmask_b32 v25, v25, v26 :: v_dual_cndmask_b32 v24, v24, v11
	global_load_b32 v11, v[24:25], off
.LBB21_29:
	s_or_b32 exec_lo, exec_lo, s0
	v_or_b32_e32 v22, 0xc00, v16
	s_mov_b32 s0, exec_lo
	s_delay_alu instid0(VALU_DEP_1)
	v_cmpx_lt_i32_e64 v22, v23
	s_cbranch_execz .LBB21_31
; %bb.30:
	v_subrev_nc_u32_e32 v24, s23, v22
	v_lshlrev_b32_e32 v12, 2, v22
	s_delay_alu instid0(VALU_DEP_2) | instskip(NEXT) | instid1(VALU_DEP_2)
	v_ashrrev_i32_e32 v25, 31, v24
	v_add_co_u32 v12, vcc_lo, v20, v12
	v_add_co_ci_u32_e32 v26, vcc_lo, 0, v21, vcc_lo
	s_delay_alu instid0(VALU_DEP_3) | instskip(NEXT) | instid1(VALU_DEP_1)
	v_lshlrev_b64 v[24:25], 2, v[24:25]
	v_add_co_u32 v24, vcc_lo, v18, v24
	s_delay_alu instid0(VALU_DEP_2) | instskip(SKIP_1) | instid1(VALU_DEP_2)
	v_add_co_ci_u32_e32 v25, vcc_lo, v19, v25, vcc_lo
	v_cmp_gt_i32_e32 vcc_lo, s23, v22
	v_dual_cndmask_b32 v25, v25, v26 :: v_dual_cndmask_b32 v24, v24, v12
	global_load_b32 v12, v[24:25], off
.LBB21_31:
	s_or_b32 exec_lo, exec_lo, s0
	v_add_nc_u32_e32 v22, 0xd00, v16
	s_mov_b32 s0, exec_lo
	s_delay_alu instid0(VALU_DEP_1)
	v_cmpx_lt_i32_e64 v22, v23
	s_cbranch_execz .LBB21_33
; %bb.32:
	v_subrev_nc_u32_e32 v24, s23, v22
	v_lshlrev_b32_e32 v13, 2, v22
	s_delay_alu instid0(VALU_DEP_2) | instskip(NEXT) | instid1(VALU_DEP_2)
	v_ashrrev_i32_e32 v25, 31, v24
	v_add_co_u32 v13, vcc_lo, v20, v13
	v_add_co_ci_u32_e32 v26, vcc_lo, 0, v21, vcc_lo
	s_delay_alu instid0(VALU_DEP_3) | instskip(NEXT) | instid1(VALU_DEP_1)
	v_lshlrev_b64 v[24:25], 2, v[24:25]
	v_add_co_u32 v24, vcc_lo, v18, v24
	s_delay_alu instid0(VALU_DEP_2) | instskip(SKIP_1) | instid1(VALU_DEP_2)
	v_add_co_ci_u32_e32 v25, vcc_lo, v19, v25, vcc_lo
	v_cmp_gt_i32_e32 vcc_lo, s23, v22
	v_dual_cndmask_b32 v25, v25, v26 :: v_dual_cndmask_b32 v24, v24, v13
	global_load_b32 v13, v[24:25], off
.LBB21_33:
	s_or_b32 exec_lo, exec_lo, s0
	v_add_nc_u32_e32 v22, 0xe00, v16
	s_mov_b32 s0, exec_lo
	s_delay_alu instid0(VALU_DEP_1)
	v_cmpx_lt_i32_e64 v22, v23
	s_cbranch_execz .LBB21_35
; %bb.34:
	v_subrev_nc_u32_e32 v24, s23, v22
	v_lshlrev_b32_e32 v14, 2, v22
	s_delay_alu instid0(VALU_DEP_2) | instskip(NEXT) | instid1(VALU_DEP_2)
	v_ashrrev_i32_e32 v25, 31, v24
	v_add_co_u32 v14, vcc_lo, v20, v14
	v_add_co_ci_u32_e32 v26, vcc_lo, 0, v21, vcc_lo
	s_delay_alu instid0(VALU_DEP_3) | instskip(NEXT) | instid1(VALU_DEP_1)
	v_lshlrev_b64 v[24:25], 2, v[24:25]
	v_add_co_u32 v24, vcc_lo, v18, v24
	s_delay_alu instid0(VALU_DEP_2) | instskip(SKIP_1) | instid1(VALU_DEP_2)
	v_add_co_ci_u32_e32 v25, vcc_lo, v19, v25, vcc_lo
	v_cmp_gt_i32_e32 vcc_lo, s23, v22
	v_cndmask_b32_e32 v25, v25, v26, vcc_lo
	s_delay_alu instid0(VALU_DEP_4)
	v_cndmask_b32_e32 v24, v24, v14, vcc_lo
	global_load_b32 v14, v[24:25], off
.LBB21_35:
	s_or_b32 exec_lo, exec_lo, s0
	v_add_nc_u32_e32 v22, 0xf00, v16
	s_mov_b32 s0, exec_lo
	s_delay_alu instid0(VALU_DEP_1)
	v_cmpx_lt_i32_e64 v22, v23
	s_cbranch_execz .LBB21_37
; %bb.36:
	v_subrev_nc_u32_e32 v24, s23, v22
	v_lshlrev_b32_e32 v15, 2, v22
	s_delay_alu instid0(VALU_DEP_2) | instskip(NEXT) | instid1(VALU_DEP_2)
	v_ashrrev_i32_e32 v25, 31, v24
	v_add_co_u32 v15, vcc_lo, v20, v15
	v_add_co_ci_u32_e32 v26, vcc_lo, 0, v21, vcc_lo
	s_delay_alu instid0(VALU_DEP_3) | instskip(NEXT) | instid1(VALU_DEP_1)
	v_lshlrev_b64 v[24:25], 2, v[24:25]
	v_add_co_u32 v24, vcc_lo, v18, v24
	s_delay_alu instid0(VALU_DEP_2) | instskip(SKIP_1) | instid1(VALU_DEP_2)
	v_add_co_ci_u32_e32 v25, vcc_lo, v19, v25, vcc_lo
	v_cmp_gt_i32_e32 vcc_lo, s23, v22
	v_dual_cndmask_b32 v25, v25, v26 :: v_dual_cndmask_b32 v24, v24, v15
	global_load_b32 v15, v[24:25], off
.LBB21_37:
	s_or_b32 exec_lo, exec_lo, s0
	v_lshlrev_b32_e32 v24, 4, v16
	v_lshlrev_b32_e32 v22, 2, v16
	s_lshl_b32 s0, s23, 2
	s_mov_b32 s2, 0
	s_addk_i32 s0, 0x4800
	v_min_i32_e32 v23, v23, v24
	s_waitcnt vmcnt(0)
	ds_store_2addr_stride64_b32 v22, v0, v1 offset0:76 offset1:80
	ds_store_2addr_stride64_b32 v22, v2, v3 offset0:84 offset1:88
	s_mov_b32 s1, exec_lo
	ds_store_2addr_stride64_b32 v22, v4, v5 offset0:92 offset1:96
	ds_store_2addr_stride64_b32 v22, v6, v7 offset0:100 offset1:104
	ds_store_2addr_stride64_b32 v22, v8, v9 offset0:108 offset1:112
	ds_store_2addr_stride64_b32 v22, v10, v11 offset0:116 offset1:120
	ds_store_2addr_stride64_b32 v22, v12, v13 offset0:124 offset1:128
	ds_store_2addr_stride64_b32 v22, v14, v15 offset0:132 offset1:136
	v_sub_nc_u32_e32 v0, v23, v17
	v_min_i32_e32 v1, s23, v23
	s_waitcnt lgkmcnt(0)
	s_barrier
	buffer_gl0_inv
	v_max_i32_e32 v0, 0, v0
	s_delay_alu instid0(VALU_DEP_1)
	v_cmpx_lt_i32_e64 v0, v1
	s_cbranch_execz .LBB21_41
; %bb.38:
	v_lshlrev_b32_e32 v2, 2, v23
	s_delay_alu instid0(VALU_DEP_1)
	v_add3_u32 v2, s0, v2, 0x400
	.p2align	6
.LBB21_39:                              ; =>This Inner Loop Header: Depth=1
	v_add_nc_u32_e32 v3, v1, v0
	s_delay_alu instid0(VALU_DEP_1) | instskip(NEXT) | instid1(VALU_DEP_1)
	v_ashrrev_i32_e32 v3, 1, v3
	v_not_b32_e32 v4, v3
	v_add_nc_u32_e32 v6, 1, v3
	v_lshlrev_b32_e32 v5, 2, v3
	s_delay_alu instid0(VALU_DEP_3)
	v_lshl_add_u32 v4, v4, 2, v2
	ds_load_b32 v5, v5 offset:19456
	ds_load_b32 v4, v4
	s_waitcnt lgkmcnt(0)
	v_cmp_lt_i32_e32 vcc_lo, v4, v5
	v_dual_cndmask_b32 v0, v6, v0 :: v_dual_cndmask_b32 v1, v1, v3
	s_delay_alu instid0(VALU_DEP_1) | instskip(SKIP_1) | instid1(SALU_CYCLE_1)
	v_cmp_ge_i32_e32 vcc_lo, v0, v1
	s_or_b32 s2, vcc_lo, s2
	s_and_not1_b32 exec_lo, exec_lo, s2
	s_cbranch_execnz .LBB21_39
; %bb.40:
	s_or_b32 exec_lo, exec_lo, s2
.LBB21_41:
	s_delay_alu instid0(SALU_CYCLE_1) | instskip(SKIP_3) | instid1(VALU_DEP_1)
	s_or_b32 exec_lo, exec_lo, s1
	v_dual_mov_b32 v2, 0 :: v_dual_add_nc_u32 v3, 0x4800, v22
	v_sub_nc_u32_e32 v4, v23, v0
	s_mov_b32 s1, exec_lo
	v_cmpx_lt_i32_e64 v4, v17
	s_cbranch_execz .LBB21_71
; %bb.42:
	v_lshl_add_u32 v5, v4, 2, s0
	v_dual_mov_b32 v1, 0 :: v_dual_mov_b32 v6, v0
	s_mov_b32 s2, exec_lo
	ds_load_b32 v2, v5 offset:1024
	v_cmpx_lt_i32_e32 0, v0
	s_cbranch_execnz .LBB21_47
; %bb.43:
	s_or_b32 exec_lo, exec_lo, s2
	s_delay_alu instid0(SALU_CYCLE_1)
	s_mov_b32 s2, exec_lo
	v_cmpx_lt_i32_e64 v1, v6
	s_cbranch_execnz .LBB21_48
.LBB21_44:
	s_or_b32 exec_lo, exec_lo, s2
	s_delay_alu instid0(SALU_CYCLE_1)
	s_mov_b32 s2, exec_lo
	v_cmpx_lt_i32_e64 v1, v6
	s_cbranch_execnz .LBB21_49
.LBB21_45:
	s_or_b32 exec_lo, exec_lo, s2
	s_delay_alu instid0(SALU_CYCLE_1)
	s_mov_b32 s2, exec_lo
	v_cmpx_lt_i32_e64 v1, v6
	s_cbranch_execnz .LBB21_50
.LBB21_46:
	s_or_b32 exec_lo, exec_lo, s2
	s_delay_alu instid0(SALU_CYCLE_1)
	s_mov_b32 s2, exec_lo
	v_cmpx_lt_i32_e64 v1, v6
	s_cbranch_execnz .LBB21_51
	s_branch .LBB21_54
.LBB21_47:
	v_mul_lo_u32 v1, 0x1ff, v0
	s_delay_alu instid0(VALU_DEP_1) | instskip(NEXT) | instid1(VALU_DEP_1)
	v_ashrrev_i32_e32 v6, 9, v1
	v_lshlrev_b32_e32 v1, 2, v6
	v_add_nc_u32_e32 v7, 1, v6
	ds_load_b32 v1, v1 offset:19456
	s_waitcnt lgkmcnt(0)
	v_cmp_lt_i32_e32 vcc_lo, v1, v2
	v_dual_cndmask_b32 v6, v6, v0 :: v_dual_cndmask_b32 v1, 0, v7
	s_or_b32 exec_lo, exec_lo, s2
	s_delay_alu instid0(SALU_CYCLE_1) | instskip(NEXT) | instid1(VALU_DEP_1)
	s_mov_b32 s2, exec_lo
	v_cmpx_lt_i32_e64 v1, v6
	s_cbranch_execz .LBB21_44
.LBB21_48:
	v_sub_nc_u32_e32 v7, v1, v6
	s_delay_alu instid0(VALU_DEP_1) | instskip(NEXT) | instid1(VALU_DEP_1)
	v_lshl_add_u32 v7, v6, 7, v7
	v_ashrrev_i32_e32 v7, 7, v7
	s_delay_alu instid0(VALU_DEP_1)
	v_add_nc_u32_e32 v9, 1, v7
	v_lshlrev_b32_e32 v8, 2, v7
	ds_load_b32 v8, v8 offset:19456
	s_waitcnt lgkmcnt(0)
	v_cmp_lt_i32_e32 vcc_lo, v8, v2
	v_dual_cndmask_b32 v6, v7, v6 :: v_dual_cndmask_b32 v1, v1, v9
	s_or_b32 exec_lo, exec_lo, s2
	s_delay_alu instid0(SALU_CYCLE_1) | instskip(NEXT) | instid1(VALU_DEP_1)
	s_mov_b32 s2, exec_lo
	v_cmpx_lt_i32_e64 v1, v6
	s_cbranch_execz .LBB21_45
.LBB21_49:
	v_sub_nc_u32_e32 v7, v1, v6
	s_delay_alu instid0(VALU_DEP_1) | instskip(NEXT) | instid1(VALU_DEP_1)
	v_lshl_add_u32 v7, v6, 5, v7
	v_ashrrev_i32_e32 v7, 5, v7
	s_delay_alu instid0(VALU_DEP_1)
	v_add_nc_u32_e32 v9, 1, v7
	v_lshlrev_b32_e32 v8, 2, v7
	ds_load_b32 v8, v8 offset:19456
	s_waitcnt lgkmcnt(0)
	v_cmp_lt_i32_e32 vcc_lo, v8, v2
	v_dual_cndmask_b32 v6, v7, v6 :: v_dual_cndmask_b32 v1, v1, v9
	s_or_b32 exec_lo, exec_lo, s2
	s_delay_alu instid0(SALU_CYCLE_1) | instskip(NEXT) | instid1(VALU_DEP_1)
	s_mov_b32 s2, exec_lo
	v_cmpx_lt_i32_e64 v1, v6
	s_cbranch_execz .LBB21_46
.LBB21_50:
	v_sub_nc_u32_e32 v7, v1, v6
	s_delay_alu instid0(VALU_DEP_1) | instskip(NEXT) | instid1(VALU_DEP_1)
	v_lshl_add_u32 v7, v6, 4, v7
	v_ashrrev_i32_e32 v7, 4, v7
	s_delay_alu instid0(VALU_DEP_1)
	v_add_nc_u32_e32 v9, 1, v7
	v_lshlrev_b32_e32 v8, 2, v7
	ds_load_b32 v8, v8 offset:19456
	s_waitcnt lgkmcnt(0)
	v_cmp_lt_i32_e32 vcc_lo, v8, v2
	v_dual_cndmask_b32 v6, v7, v6 :: v_dual_cndmask_b32 v1, v1, v9
	s_or_b32 exec_lo, exec_lo, s2
	s_delay_alu instid0(SALU_CYCLE_1) | instskip(NEXT) | instid1(VALU_DEP_1)
	s_mov_b32 s2, exec_lo
	v_cmpx_lt_i32_e64 v1, v6
	s_cbranch_execz .LBB21_54
.LBB21_51:
	s_mov_b32 s3, 0
.LBB21_52:                              ; =>This Inner Loop Header: Depth=1
	v_sub_nc_u32_e32 v7, v1, v6
	s_delay_alu instid0(VALU_DEP_1) | instskip(NEXT) | instid1(VALU_DEP_1)
	v_lshl_add_u32 v7, v6, 1, v7
	v_ashrrev_i32_e32 v7, 1, v7
	s_delay_alu instid0(VALU_DEP_1)
	v_add_nc_u32_e32 v9, 1, v7
	v_lshlrev_b32_e32 v8, 2, v7
	ds_load_b32 v8, v8 offset:19456
	s_waitcnt lgkmcnt(0)
	v_cmp_lt_i32_e32 vcc_lo, v8, v2
	v_dual_cndmask_b32 v6, v7, v6 :: v_dual_cndmask_b32 v1, v1, v9
	s_delay_alu instid0(VALU_DEP_1) | instskip(SKIP_1) | instid1(SALU_CYCLE_1)
	v_cmp_ge_i32_e32 vcc_lo, v1, v6
	s_or_b32 s3, vcc_lo, s3
	s_and_not1_b32 exec_lo, exec_lo, s3
	s_cbranch_execnz .LBB21_52
; %bb.53:
	s_or_b32 exec_lo, exec_lo, s3
.LBB21_54:
	s_delay_alu instid0(SALU_CYCLE_1)
	s_or_b32 exec_lo, exec_lo, s2
	v_dual_mov_b32 v6, 0 :: v_dual_add_nc_u32 v5, 0x400, v5
	v_mov_b32_e32 v7, v4
	s_mov_b32 s2, exec_lo
	v_cmpx_lt_i32_e32 0, v4
	s_cbranch_execnz .LBB21_59
; %bb.55:
	s_or_b32 exec_lo, exec_lo, s2
	s_delay_alu instid0(SALU_CYCLE_1)
	s_mov_b32 s2, exec_lo
	v_cmpx_lt_i32_e64 v6, v7
	s_cbranch_execnz .LBB21_60
.LBB21_56:
	s_or_b32 exec_lo, exec_lo, s2
	s_delay_alu instid0(SALU_CYCLE_1)
	s_mov_b32 s2, exec_lo
	v_cmpx_lt_i32_e64 v6, v7
	s_cbranch_execnz .LBB21_61
.LBB21_57:
	s_or_b32 exec_lo, exec_lo, s2
	s_delay_alu instid0(SALU_CYCLE_1)
	s_mov_b32 s2, exec_lo
	v_cmpx_lt_i32_e64 v6, v7
	s_cbranch_execnz .LBB21_62
.LBB21_58:
	s_or_b32 exec_lo, exec_lo, s2
	s_delay_alu instid0(SALU_CYCLE_1)
	s_mov_b32 s2, exec_lo
	v_cmpx_lt_i32_e64 v6, v7
	s_cbranch_execnz .LBB21_63
	s_branch .LBB21_66
.LBB21_59:
	v_mul_lo_u32 v6, 0x1ff, v4
	s_delay_alu instid0(VALU_DEP_1) | instskip(NEXT) | instid1(VALU_DEP_1)
	v_ashrrev_i32_e32 v7, 9, v6
	v_lshl_add_u32 v6, v7, 2, s0
	ds_load_b32 v6, v6 offset:1024
	s_waitcnt lgkmcnt(0)
	v_cmp_lt_i32_e32 vcc_lo, v6, v2
	v_dual_cndmask_b32 v7, v7, v4 :: v_dual_add_nc_u32 v8, 1, v7
	s_delay_alu instid0(VALU_DEP_1) | instskip(SKIP_1) | instid1(SALU_CYCLE_1)
	v_cndmask_b32_e32 v6, 0, v8, vcc_lo
	s_or_b32 exec_lo, exec_lo, s2
	s_mov_b32 s2, exec_lo
	s_delay_alu instid0(VALU_DEP_1)
	v_cmpx_lt_i32_e64 v6, v7
	s_cbranch_execz .LBB21_56
.LBB21_60:
	v_sub_nc_u32_e32 v8, v6, v7
	s_delay_alu instid0(VALU_DEP_1) | instskip(NEXT) | instid1(VALU_DEP_1)
	v_lshl_add_u32 v8, v7, 7, v8
	v_ashrrev_i32_e32 v8, 7, v8
	s_delay_alu instid0(VALU_DEP_1) | instskip(SKIP_4) | instid1(VALU_DEP_1)
	v_lshl_add_u32 v9, v8, 2, s0
	ds_load_b32 v9, v9 offset:1024
	s_waitcnt lgkmcnt(0)
	v_cmp_lt_i32_e32 vcc_lo, v9, v2
	v_dual_cndmask_b32 v7, v8, v7 :: v_dual_add_nc_u32 v10, 1, v8
	v_cndmask_b32_e32 v6, v6, v10, vcc_lo
	s_or_b32 exec_lo, exec_lo, s2
	s_delay_alu instid0(SALU_CYCLE_1) | instskip(NEXT) | instid1(VALU_DEP_1)
	s_mov_b32 s2, exec_lo
	v_cmpx_lt_i32_e64 v6, v7
	s_cbranch_execz .LBB21_57
.LBB21_61:
	v_sub_nc_u32_e32 v8, v6, v7
	s_delay_alu instid0(VALU_DEP_1) | instskip(NEXT) | instid1(VALU_DEP_1)
	v_lshl_add_u32 v8, v7, 5, v8
	v_ashrrev_i32_e32 v8, 5, v8
	s_delay_alu instid0(VALU_DEP_1) | instskip(SKIP_4) | instid1(VALU_DEP_1)
	v_lshl_add_u32 v9, v8, 2, s0
	ds_load_b32 v9, v9 offset:1024
	s_waitcnt lgkmcnt(0)
	v_cmp_lt_i32_e32 vcc_lo, v9, v2
	v_dual_cndmask_b32 v7, v8, v7 :: v_dual_add_nc_u32 v10, 1, v8
	v_cndmask_b32_e32 v6, v6, v10, vcc_lo
	s_or_b32 exec_lo, exec_lo, s2
	s_delay_alu instid0(SALU_CYCLE_1) | instskip(NEXT) | instid1(VALU_DEP_1)
	s_mov_b32 s2, exec_lo
	v_cmpx_lt_i32_e64 v6, v7
	s_cbranch_execz .LBB21_58
.LBB21_62:
	v_sub_nc_u32_e32 v8, v6, v7
	s_delay_alu instid0(VALU_DEP_1) | instskip(NEXT) | instid1(VALU_DEP_1)
	v_lshl_add_u32 v8, v7, 4, v8
	v_ashrrev_i32_e32 v8, 4, v8
	s_delay_alu instid0(VALU_DEP_1) | instskip(SKIP_4) | instid1(VALU_DEP_1)
	v_lshl_add_u32 v9, v8, 2, s0
	ds_load_b32 v9, v9 offset:1024
	s_waitcnt lgkmcnt(0)
	v_cmp_lt_i32_e32 vcc_lo, v9, v2
	v_dual_cndmask_b32 v7, v8, v7 :: v_dual_add_nc_u32 v10, 1, v8
	v_cndmask_b32_e32 v6, v6, v10, vcc_lo
	s_or_b32 exec_lo, exec_lo, s2
	s_delay_alu instid0(SALU_CYCLE_1) | instskip(NEXT) | instid1(VALU_DEP_1)
	s_mov_b32 s2, exec_lo
	v_cmpx_lt_i32_e64 v6, v7
	s_cbranch_execz .LBB21_66
.LBB21_63:
	s_add_i32 s3, s0, 0x400
	s_mov_b32 s0, 0
.LBB21_64:                              ; =>This Inner Loop Header: Depth=1
	v_sub_nc_u32_e32 v8, v6, v7
	s_delay_alu instid0(VALU_DEP_1) | instskip(NEXT) | instid1(VALU_DEP_1)
	v_lshl_add_u32 v8, v7, 1, v8
	v_ashrrev_i32_e32 v8, 1, v8
	s_delay_alu instid0(VALU_DEP_1) | instskip(SKIP_4) | instid1(VALU_DEP_1)
	v_lshl_add_u32 v9, v8, 2, s3
	ds_load_b32 v9, v9
	s_waitcnt lgkmcnt(0)
	v_cmp_lt_i32_e32 vcc_lo, v9, v2
	v_dual_cndmask_b32 v7, v8, v7 :: v_dual_add_nc_u32 v10, 1, v8
	v_cndmask_b32_e32 v6, v6, v10, vcc_lo
	s_delay_alu instid0(VALU_DEP_1) | instskip(SKIP_1) | instid1(SALU_CYCLE_1)
	v_cmp_ge_i32_e32 vcc_lo, v6, v7
	s_or_b32 s0, vcc_lo, s0
	s_and_not1_b32 exec_lo, exec_lo, s0
	s_cbranch_execnz .LBB21_64
; %bb.65:
	s_or_b32 exec_lo, exec_lo, s0
.LBB21_66:
	s_delay_alu instid0(SALU_CYCLE_1) | instskip(SKIP_4) | instid1(VALU_DEP_1)
	s_or_b32 exec_lo, exec_lo, s2
	v_sub_nc_u32_e32 v0, v0, v1
	v_sub_nc_u32_e32 v8, v4, v6
	s_mov_b32 s2, 0
	s_mov_b32 s0, exec_lo
	v_add_nc_u32_e32 v7, v8, v0
	s_delay_alu instid0(VALU_DEP_1) | instskip(NEXT) | instid1(VALU_DEP_1)
	v_ashrrev_i32_e32 v0, 1, v7
	v_max_i32_e32 v0, v0, v8
	s_delay_alu instid0(VALU_DEP_1) | instskip(NEXT) | instid1(VALU_DEP_1)
	v_add3_u32 v6, v6, v0, 1
	v_min_i32_e32 v6, v6, v17
	s_delay_alu instid0(VALU_DEP_1) | instskip(SKIP_1) | instid1(VALU_DEP_2)
	v_sub_nc_u32_e32 v6, v6, v4
	v_mov_b32_e32 v4, 0
	v_cmpx_lt_i32_e32 0, v6
	s_cbranch_execz .LBB21_70
; %bb.67:
	v_mov_b32_e32 v4, 0
.LBB21_68:                              ; =>This Inner Loop Header: Depth=1
	s_delay_alu instid0(VALU_DEP_1) | instskip(NEXT) | instid1(VALU_DEP_1)
	v_add_nc_u32_e32 v9, v4, v6
	v_ashrrev_i32_e32 v9, 1, v9
	s_delay_alu instid0(VALU_DEP_1)
	v_lshl_add_u32 v10, v9, 2, v5
	v_add_nc_u32_e32 v11, 1, v9
	ds_load_b32 v10, v10
	s_waitcnt lgkmcnt(0)
	v_cmp_gt_i32_e32 vcc_lo, v10, v2
	v_cndmask_b32_e32 v4, v11, v4, vcc_lo
	v_cndmask_b32_e32 v6, v6, v9, vcc_lo
	s_delay_alu instid0(VALU_DEP_1) | instskip(SKIP_1) | instid1(SALU_CYCLE_1)
	v_cmp_ge_i32_e32 vcc_lo, v4, v6
	s_or_b32 s2, vcc_lo, s2
	s_and_not1_b32 exec_lo, exec_lo, s2
	s_cbranch_execnz .LBB21_68
; %bb.69:
	s_or_b32 exec_lo, exec_lo, s2
.LBB21_70:
	s_delay_alu instid0(SALU_CYCLE_1) | instskip(SKIP_2) | instid1(VALU_DEP_1)
	s_or_b32 exec_lo, exec_lo, s0
	s_waitcnt lgkmcnt(0)
	v_add_nc_u32_e32 v2, v4, v8
	v_min_i32_e32 v4, v2, v0
	v_cmp_lt_i32_e32 vcc_lo, v0, v2
	s_delay_alu instid0(VALU_DEP_2) | instskip(SKIP_1) | instid1(VALU_DEP_2)
	v_sub_nc_u32_e32 v5, v7, v4
	v_add_nc_u32_e32 v4, 1, v4
	v_add_nc_u32_e32 v0, v5, v1
	s_delay_alu instid0(VALU_DEP_2) | instskip(NEXT) | instid1(VALU_DEP_1)
	v_cmp_eq_u32_e64 s0, v5, v4
	s_and_b32 s0, vcc_lo, s0
	s_delay_alu instid0(SALU_CYCLE_1)
	v_cndmask_b32_e64 v2, 0, 1, s0
.LBB21_71:
	s_or_b32 exec_lo, exec_lo, s1
	s_delay_alu instid0(VALU_DEP_1)
	v_add_nc_u32_e32 v1, v2, v23
	s_lshl_b32 s0, s23, 16
	v_add_nc_u32_e32 v2, -1, v16
	v_or_b32_e32 v4, s0, v17
	v_cmp_eq_u32_e64 s0, 0, v16
	v_sub_nc_u32_e32 v6, v1, v0
	s_delay_alu instid0(VALU_DEP_1) | instskip(NEXT) | instid1(VALU_DEP_1)
	v_lshl_or_b32 v5, v0, 16, v6
	v_cndmask_b32_e64 v7, v5, v4, s0
	v_cndmask_b32_e64 v4, v2, 0xff, s0
	v_add_nc_u32_e32 v2, s23, v6
	v_lshlrev_b32_e32 v5, 2, v0
	s_delay_alu instid0(VALU_DEP_3) | instskip(NEXT) | instid1(VALU_DEP_3)
	v_lshlrev_b32_e32 v8, 2, v4
	v_lshlrev_b32_e32 v4, 2, v2
	ds_store_b32 v8, v7 offset:18432
	s_waitcnt lgkmcnt(0)
	s_barrier
	buffer_gl0_inv
	ds_load_b32 v7, v3
	ds_load_b32 v24, v5 offset:19456
	ds_load_b32 v25, v4 offset:19456
	s_waitcnt lgkmcnt(2)
	v_ashrrev_i32_e32 v15, 16, v7
	s_waitcnt lgkmcnt(1)
	v_dual_mov_b32 v26, v24 :: v_dual_and_b32 v3, 0xffff, v7
	s_waitcnt lgkmcnt(0)
	v_cmp_lt_i32_e32 vcc_lo, v25, v24
	v_cmp_le_i32_e64 s3, v15, v0
	v_cndmask_b32_e64 v7, 0, 1, vcc_lo
	v_cmp_le_i32_e32 vcc_lo, v3, v6
	s_delay_alu instid0(VALU_DEP_3)
	v_cndmask_b32_e64 v6, 0, 1, s3
	s_or_b32 s2, s3, vcc_lo
	s_delay_alu instid0(VALU_DEP_1) | instid1(SALU_CYCLE_1)
	v_cndmask_b32_e64 v6, v7, v6, s2
	s_delay_alu instid0(VALU_DEP_1) | instskip(NEXT) | instid1(VALU_DEP_1)
	v_and_b32_e32 v6, 1, v6
	v_cmp_eq_u32_e64 s1, 1, v6
	s_delay_alu instid0(VALU_DEP_1) | instskip(NEXT) | instid1(SALU_CYCLE_1)
	s_xor_b32 s5, s1, -1
	s_and_saveexec_b32 s4, s5
	s_cbranch_execz .LBB21_73
; %bb.72:
	ds_load_b32 v26, v5 offset:19460
	v_add_nc_u32_e32 v0, 1, v0
.LBB21_73:
	s_or_b32 exec_lo, exec_lo, s4
	s_xor_b32 s4, s3, -1
	v_cmp_lt_i32_e64 s3, v24, v25
	v_mov_b32_e32 v27, v25
	s_delay_alu instid0(VALU_DEP_2) | instskip(SKIP_1) | instid1(SALU_CYCLE_1)
	v_cndmask_b32_e64 v5, 0, 1, s3
	s_and_b32 s3, vcc_lo, s4
	v_cndmask_b32_e64 v6, 0, 1, s3
	s_delay_alu instid0(VALU_DEP_1) | instskip(NEXT) | instid1(VALU_DEP_1)
	v_cndmask_b32_e64 v5, v5, v6, s2
	v_and_b32_e32 v5, 1, v5
	s_delay_alu instid0(VALU_DEP_1) | instskip(SKIP_1) | instid1(SALU_CYCLE_1)
	v_cmp_eq_u32_e32 vcc_lo, 1, v5
	s_xor_b32 s3, vcc_lo, -1
	s_and_saveexec_b32 s2, s3
	s_cbranch_execz .LBB21_75
; %bb.74:
	ds_load_b32 v27, v4 offset:19460
	v_add_nc_u32_e32 v2, 1, v2
.LBB21_75:
	s_or_b32 exec_lo, exec_lo, s2
	s_waitcnt lgkmcnt(0)
	v_dual_mov_b32 v28, v26 :: v_dual_add_nc_u32 v23, s23, v3
	v_cmp_ge_i32_e32 vcc_lo, v0, v15
	v_cmp_lt_i32_e64 s2, v27, v26
	s_delay_alu instid0(VALU_DEP_3) | instskip(SKIP_1) | instid1(VALU_DEP_3)
	v_cmp_ge_i32_e64 s3, v2, v23
	v_cndmask_b32_e64 v3, 0, 1, vcc_lo
	v_cndmask_b32_e64 v4, 0, 1, s2
	s_delay_alu instid0(VALU_DEP_3)
	s_or_b32 s2, vcc_lo, s3
	s_delay_alu instid0(VALU_DEP_1) | instid1(SALU_CYCLE_1)
	v_cndmask_b32_e64 v3, v4, v3, s2
	s_delay_alu instid0(VALU_DEP_1) | instskip(NEXT) | instid1(VALU_DEP_1)
	v_and_b32_e32 v3, 1, v3
	v_cmp_eq_u32_e64 s2, 1, v3
	v_mov_b32_e32 v3, v0
	s_delay_alu instid0(VALU_DEP_2) | instskip(NEXT) | instid1(SALU_CYCLE_1)
	s_xor_b32 s5, s2, -1
	s_and_saveexec_b32 s4, s5
	s_cbranch_execz .LBB21_77
; %bb.76:
	v_lshlrev_b32_e32 v3, 2, v0
	ds_load_b32 v28, v3 offset:19460
	v_add_nc_u32_e32 v3, 1, v0
.LBB21_77:
	s_or_b32 exec_lo, exec_lo, s4
	v_cmp_lt_i32_e64 s4, v26, v27
	s_xor_b32 s5, vcc_lo, -1
	v_dual_mov_b32 v29, v27 :: v_dual_mov_b32 v4, v2
	s_delay_alu instid0(VALU_DEP_2) | instskip(NEXT) | instid1(SALU_CYCLE_1)
	s_or_b32 s3, s3, s4
	s_and_b32 s3, s5, s3
	s_delay_alu instid0(SALU_CYCLE_1) | instskip(NEXT) | instid1(SALU_CYCLE_1)
	s_xor_b32 s4, s3, -1
	s_and_saveexec_b32 s3, s4
	s_cbranch_execz .LBB21_79
; %bb.78:
	v_lshlrev_b32_e32 v4, 2, v2
	ds_load_b32 v29, v4 offset:19460
	v_add_nc_u32_e32 v4, 1, v2
.LBB21_79:
	s_or_b32 exec_lo, exec_lo, s3
	v_cmp_ge_i32_e64 s4, v3, v15
	s_waitcnt lgkmcnt(0)
	v_cmp_lt_i32_e64 s3, v29, v28
	v_cmp_ge_i32_e32 vcc_lo, v4, v23
	v_mov_b32_e32 v30, v28
	v_cndmask_b32_e64 v5, 0, 1, s4
	s_delay_alu instid0(VALU_DEP_4)
	v_cndmask_b32_e64 v6, 0, 1, s3
	s_or_b32 s3, s4, vcc_lo
	s_delay_alu instid0(VALU_DEP_1) | instid1(SALU_CYCLE_1)
	v_cndmask_b32_e64 v5, v6, v5, s3
	s_delay_alu instid0(VALU_DEP_1) | instskip(NEXT) | instid1(VALU_DEP_1)
	v_and_b32_e32 v5, 1, v5
	v_cmp_eq_u32_e64 s3, 1, v5
	v_mov_b32_e32 v5, v3
	s_delay_alu instid0(VALU_DEP_2) | instskip(NEXT) | instid1(SALU_CYCLE_1)
	s_xor_b32 s6, s3, -1
	s_and_saveexec_b32 s5, s6
	s_cbranch_execz .LBB21_81
; %bb.80:
	v_lshlrev_b32_e32 v5, 2, v3
	ds_load_b32 v30, v5 offset:19460
	v_add_nc_u32_e32 v5, 1, v3
.LBB21_81:
	s_or_b32 exec_lo, exec_lo, s5
	v_cmp_lt_i32_e64 s5, v28, v29
	s_xor_b32 s4, s4, -1
	v_dual_mov_b32 v31, v29 :: v_dual_mov_b32 v6, v4
	s_delay_alu instid0(VALU_DEP_2) | instskip(NEXT) | instid1(SALU_CYCLE_1)
	s_or_b32 s5, vcc_lo, s5
	s_and_b32 s4, s4, s5
	s_delay_alu instid0(SALU_CYCLE_1) | instskip(NEXT) | instid1(SALU_CYCLE_1)
	s_xor_b32 s5, s4, -1
	s_and_saveexec_b32 s4, s5
	s_cbranch_execz .LBB21_83
; %bb.82:
	v_lshlrev_b32_e32 v6, 2, v4
	ds_load_b32 v31, v6 offset:19460
	v_add_nc_u32_e32 v6, 1, v4
.LBB21_83:
	s_or_b32 exec_lo, exec_lo, s4
	v_cmp_ge_i32_e64 s5, v5, v15
	s_waitcnt lgkmcnt(0)
	v_cmp_lt_i32_e64 s4, v31, v30
	v_cmp_ge_i32_e32 vcc_lo, v6, v23
	v_mov_b32_e32 v32, v30
	v_cndmask_b32_e64 v7, 0, 1, s5
	s_delay_alu instid0(VALU_DEP_4)
	v_cndmask_b32_e64 v8, 0, 1, s4
	s_or_b32 s4, s5, vcc_lo
	s_delay_alu instid0(VALU_DEP_1) | instid1(SALU_CYCLE_1)
	v_cndmask_b32_e64 v7, v8, v7, s4
	s_delay_alu instid0(VALU_DEP_1) | instskip(NEXT) | instid1(VALU_DEP_1)
	v_and_b32_e32 v7, 1, v7
	v_cmp_eq_u32_e64 s4, 1, v7
	v_mov_b32_e32 v7, v5
	s_delay_alu instid0(VALU_DEP_2) | instskip(NEXT) | instid1(SALU_CYCLE_1)
	s_xor_b32 s7, s4, -1
	s_and_saveexec_b32 s6, s7
	s_cbranch_execz .LBB21_85
; %bb.84:
	v_lshlrev_b32_e32 v7, 2, v5
	ds_load_b32 v32, v7 offset:19460
	v_add_nc_u32_e32 v7, 1, v5
.LBB21_85:
	s_or_b32 exec_lo, exec_lo, s6
	v_cmp_lt_i32_e64 s6, v30, v31
	s_xor_b32 s5, s5, -1
	v_dual_mov_b32 v33, v31 :: v_dual_mov_b32 v8, v6
	s_delay_alu instid0(VALU_DEP_2) | instskip(NEXT) | instid1(SALU_CYCLE_1)
	s_or_b32 s6, vcc_lo, s6
	;; [unrolled: 41-line block ×3, first 2 shown]
	s_and_b32 s6, s6, s7
	s_delay_alu instid0(SALU_CYCLE_1) | instskip(NEXT) | instid1(SALU_CYCLE_1)
	s_xor_b32 s7, s6, -1
	s_and_saveexec_b32 s6, s7
	s_cbranch_execz .LBB21_91
; %bb.90:
	v_lshlrev_b32_e32 v10, 2, v8
	ds_load_b32 v35, v10 offset:19460
	v_add_nc_u32_e32 v10, 1, v8
.LBB21_91:
	s_or_b32 exec_lo, exec_lo, s6
	v_cmp_ge_i32_e64 s7, v9, v15
	s_waitcnt lgkmcnt(0)
	v_cmp_lt_i32_e64 s6, v35, v34
	v_cmp_ge_i32_e32 vcc_lo, v10, v23
	v_mov_b32_e32 v36, v34
	v_cndmask_b32_e64 v11, 0, 1, s7
	s_delay_alu instid0(VALU_DEP_4)
	v_cndmask_b32_e64 v12, 0, 1, s6
	s_or_b32 s6, s7, vcc_lo
	s_delay_alu instid0(VALU_DEP_1) | instid1(SALU_CYCLE_1)
	v_cndmask_b32_e64 v11, v12, v11, s6
	s_delay_alu instid0(VALU_DEP_1) | instskip(NEXT) | instid1(VALU_DEP_1)
	v_and_b32_e32 v11, 1, v11
	v_cmp_eq_u32_e64 s6, 1, v11
	v_mov_b32_e32 v11, v9
	s_delay_alu instid0(VALU_DEP_2) | instskip(NEXT) | instid1(SALU_CYCLE_1)
	s_xor_b32 s9, s6, -1
	s_and_saveexec_b32 s8, s9
	s_cbranch_execz .LBB21_93
; %bb.92:
	v_lshlrev_b32_e32 v11, 2, v9
	ds_load_b32 v36, v11 offset:19460
	v_add_nc_u32_e32 v11, 1, v9
.LBB21_93:
	s_or_b32 exec_lo, exec_lo, s8
	v_cmp_lt_i32_e64 s8, v34, v35
	s_xor_b32 s7, s7, -1
	v_mov_b32_e32 v37, v35
	v_mov_b32_e32 v13, v10
	s_delay_alu instid0(VALU_DEP_3) | instskip(NEXT) | instid1(SALU_CYCLE_1)
	s_or_b32 s8, vcc_lo, s8
	s_and_b32 s7, s7, s8
	s_delay_alu instid0(SALU_CYCLE_1) | instskip(NEXT) | instid1(SALU_CYCLE_1)
	s_xor_b32 s8, s7, -1
	s_and_saveexec_b32 s7, s8
	s_cbranch_execz .LBB21_95
; %bb.94:
	v_lshlrev_b32_e32 v12, 2, v10
	v_add_nc_u32_e32 v13, 1, v10
	ds_load_b32 v37, v12 offset:19460
.LBB21_95:
	s_or_b32 exec_lo, exec_lo, s7
	v_cmp_ge_i32_e64 s8, v11, v15
	s_waitcnt lgkmcnt(0)
	v_cmp_lt_i32_e64 s7, v37, v36
	v_cmp_ge_i32_e32 vcc_lo, v13, v23
	v_mov_b32_e32 v38, v36
	v_cndmask_b32_e64 v12, 0, 1, s8
	s_delay_alu instid0(VALU_DEP_4)
	v_cndmask_b32_e64 v14, 0, 1, s7
	s_or_b32 s7, s8, vcc_lo
	s_delay_alu instid0(VALU_DEP_1) | instid1(SALU_CYCLE_1)
	v_cndmask_b32_e64 v12, v14, v12, s7
	s_delay_alu instid0(VALU_DEP_1) | instskip(NEXT) | instid1(VALU_DEP_1)
	v_and_b32_e32 v12, 1, v12
	v_cmp_eq_u32_e64 s7, 1, v12
	v_mov_b32_e32 v12, v11
	s_delay_alu instid0(VALU_DEP_2) | instskip(NEXT) | instid1(SALU_CYCLE_1)
	s_xor_b32 s10, s7, -1
	s_and_saveexec_b32 s9, s10
	s_cbranch_execz .LBB21_97
; %bb.96:
	v_lshlrev_b32_e32 v12, 2, v11
	ds_load_b32 v38, v12 offset:19460
	v_add_nc_u32_e32 v12, 1, v11
.LBB21_97:
	s_or_b32 exec_lo, exec_lo, s9
	v_cmp_lt_i32_e64 s9, v36, v37
	s_xor_b32 s8, s8, -1
	v_mov_b32_e32 v39, v37
	v_mov_b32_e32 v14, v13
	s_delay_alu instid0(VALU_DEP_3) | instskip(NEXT) | instid1(SALU_CYCLE_1)
	s_or_b32 s9, vcc_lo, s9
	s_and_b32 s8, s8, s9
	s_delay_alu instid0(SALU_CYCLE_1) | instskip(NEXT) | instid1(SALU_CYCLE_1)
	s_xor_b32 s9, s8, -1
	s_and_saveexec_b32 s8, s9
	s_cbranch_execz .LBB21_99
; %bb.98:
	v_lshlrev_b32_e32 v14, 2, v13
	ds_load_b32 v39, v14 offset:19460
	v_add_nc_u32_e32 v14, 1, v13
.LBB21_99:
	s_or_b32 exec_lo, exec_lo, s8
	v_cmp_ge_i32_e64 s9, v12, v15
	s_waitcnt lgkmcnt(0)
	v_cmp_lt_i32_e64 s8, v39, v38
	v_cmp_ge_i32_e32 vcc_lo, v14, v23
	v_mov_b32_e32 v58, v12
	v_cndmask_b32_e64 v40, 0, 1, s9
	s_delay_alu instid0(VALU_DEP_4)
	v_cndmask_b32_e64 v41, 0, 1, s8
	s_or_b32 s8, s9, vcc_lo
	s_delay_alu instid0(VALU_DEP_1) | instid1(SALU_CYCLE_1)
	v_cndmask_b32_e64 v40, v41, v40, s8
	s_delay_alu instid0(VALU_DEP_1) | instskip(NEXT) | instid1(VALU_DEP_1)
	v_and_b32_e32 v40, 1, v40
	v_cmp_eq_u32_e64 s8, 1, v40
	v_mov_b32_e32 v40, v38
	s_delay_alu instid0(VALU_DEP_2) | instskip(NEXT) | instid1(SALU_CYCLE_1)
	s_xor_b32 s11, s8, -1
	s_and_saveexec_b32 s10, s11
	s_cbranch_execz .LBB21_101
; %bb.100:
	v_lshlrev_b32_e32 v40, 2, v12
	v_add_nc_u32_e32 v58, 1, v12
	ds_load_b32 v40, v40 offset:19460
.LBB21_101:
	s_or_b32 exec_lo, exec_lo, s10
	v_cmp_lt_i32_e64 s10, v38, v39
	s_xor_b32 s9, s9, -1
	v_mov_b32_e32 v41, v39
	v_mov_b32_e32 v59, v14
	s_delay_alu instid0(VALU_DEP_3) | instskip(NEXT) | instid1(SALU_CYCLE_1)
	s_or_b32 s10, vcc_lo, s10
	s_and_b32 s9, s9, s10
	s_delay_alu instid0(SALU_CYCLE_1) | instskip(NEXT) | instid1(SALU_CYCLE_1)
	s_xor_b32 s10, s9, -1
	s_and_saveexec_b32 s9, s10
	s_cbranch_execz .LBB21_103
; %bb.102:
	v_lshlrev_b32_e32 v41, 2, v14
	v_add_nc_u32_e32 v59, 1, v14
	ds_load_b32 v41, v41 offset:19460
.LBB21_103:
	s_or_b32 exec_lo, exec_lo, s9
	v_cmp_ge_i32_e64 s10, v58, v15
	s_waitcnt lgkmcnt(0)
	v_cmp_lt_i32_e64 s9, v41, v40
	v_cmp_ge_i32_e32 vcc_lo, v59, v23
	v_mov_b32_e32 v60, v58
	v_cndmask_b32_e64 v42, 0, 1, s10
	s_delay_alu instid0(VALU_DEP_4)
	v_cndmask_b32_e64 v43, 0, 1, s9
	s_or_b32 s9, s10, vcc_lo
	s_delay_alu instid0(VALU_DEP_1) | instid1(SALU_CYCLE_1)
	v_cndmask_b32_e64 v42, v43, v42, s9
	s_delay_alu instid0(VALU_DEP_1) | instskip(NEXT) | instid1(VALU_DEP_1)
	v_and_b32_e32 v42, 1, v42
	v_cmp_eq_u32_e64 s9, 1, v42
	v_mov_b32_e32 v42, v40
	s_delay_alu instid0(VALU_DEP_2) | instskip(NEXT) | instid1(SALU_CYCLE_1)
	s_xor_b32 s12, s9, -1
	s_and_saveexec_b32 s11, s12
	s_cbranch_execz .LBB21_105
; %bb.104:
	v_lshlrev_b32_e32 v42, 2, v58
	v_add_nc_u32_e32 v60, 1, v58
	ds_load_b32 v42, v42 offset:19460
.LBB21_105:
	s_or_b32 exec_lo, exec_lo, s11
	v_cmp_lt_i32_e64 s11, v40, v41
	s_xor_b32 s10, s10, -1
	v_mov_b32_e32 v43, v41
	v_mov_b32_e32 v61, v59
	s_delay_alu instid0(VALU_DEP_3) | instskip(NEXT) | instid1(SALU_CYCLE_1)
	s_or_b32 s11, vcc_lo, s11
	s_and_b32 s10, s10, s11
	s_delay_alu instid0(SALU_CYCLE_1) | instskip(NEXT) | instid1(SALU_CYCLE_1)
	s_xor_b32 s11, s10, -1
	s_and_saveexec_b32 s10, s11
	s_cbranch_execz .LBB21_107
; %bb.106:
	v_lshlrev_b32_e32 v43, 2, v59
	v_add_nc_u32_e32 v61, 1, v59
	ds_load_b32 v43, v43 offset:19460
.LBB21_107:
	;; [unrolled: 42-line block ×7, first 2 shown]
	s_or_b32 exec_lo, exec_lo, s15
	v_cmp_ge_i32_e64 s16, v70, v15
	s_waitcnt lgkmcnt(0)
	v_cmp_lt_i32_e64 s15, v53, v52
	v_cmp_ge_i32_e32 vcc_lo, v71, v23
	s_delay_alu instid0(VALU_DEP_3) | instskip(NEXT) | instid1(VALU_DEP_3)
	v_cndmask_b32_e64 v54, 0, 1, s16
	v_cndmask_b32_e64 v55, 0, 1, s15
	s_or_b32 s15, s16, vcc_lo
	s_delay_alu instid0(VALU_DEP_1) | instid1(SALU_CYCLE_1)
	v_cndmask_b32_e64 v54, v55, v54, s15
	s_delay_alu instid0(VALU_DEP_1) | instskip(NEXT) | instid1(VALU_DEP_1)
	v_dual_mov_b32 v55, v70 :: v_dual_and_b32 v54, 1, v54
	v_cmp_eq_u32_e64 s15, 1, v54
	v_mov_b32_e32 v54, v52
	s_delay_alu instid0(VALU_DEP_2) | instskip(NEXT) | instid1(SALU_CYCLE_1)
	s_xor_b32 s18, s15, -1
	s_and_saveexec_b32 s17, s18
	s_cbranch_execz .LBB21_129
; %bb.128:
	v_lshlrev_b32_e32 v54, 2, v70
	v_add_nc_u32_e32 v55, 1, v70
	ds_load_b32 v54, v54 offset:19460
.LBB21_129:
	s_or_b32 exec_lo, exec_lo, s17
	v_cmp_lt_i32_e64 s17, v52, v53
	s_xor_b32 s16, s16, -1
	v_dual_mov_b32 v56, v53 :: v_dual_mov_b32 v57, v71
	s_delay_alu instid0(VALU_DEP_2) | instskip(NEXT) | instid1(SALU_CYCLE_1)
	s_or_b32 s17, vcc_lo, s17
	s_and_b32 s16, s16, s17
	s_delay_alu instid0(SALU_CYCLE_1) | instskip(NEXT) | instid1(SALU_CYCLE_1)
	s_xor_b32 s17, s16, -1
	s_and_saveexec_b32 s16, s17
	s_cbranch_execz .LBB21_131
; %bb.130:
	v_lshlrev_b32_e32 v56, 2, v71
	v_add_nc_u32_e32 v57, 1, v71
	ds_load_b32 v56, v56 offset:19460
.LBB21_131:
	s_or_b32 exec_lo, exec_lo, s16
	v_add_nc_u32_e32 v72, v57, v55
	v_add_nc_u32_e32 v73, v23, v15
	;; [unrolled: 1-line block ×7, first 2 shown]
	v_cmp_lt_i32_e64 s16, v9, v73
	v_mov_b32_e32 v9, 0
	v_cmp_lt_i32_e32 vcc_lo, v72, v73
	v_add_nc_u32_e32 v64, v65, v64
	v_add_nc_u32_e32 v7, v8, v7
	;; [unrolled: 1-line block ×3, first 2 shown]
	v_cmp_lt_i32_e64 s19, v3, v73
	v_cndmask_b32_e64 v70, 0, 1, vcc_lo
	v_cmp_lt_i32_e32 vcc_lo, v68, v73
	v_cmp_lt_i32_e64 s20, v0, v73
	v_add_nc_u32_e32 v1, s23, v1
	v_add_nc_u32_e32 v11, v13, v11
	v_cmp_lt_i32_e64 s17, v7, v73
	v_cndmask_b32_e64 v65, 0, 1, vcc_lo
	v_cmp_lt_i32_e32 vcc_lo, v64, v73
	v_cndmask_b32_e64 v3, 0, 1, s19
	v_cndmask_b32_e64 v0, 0, 1, s20
	v_cmp_lt_i32_e64 s18, v4, v73
	v_cmp_lt_i32_e64 s21, v1, v73
	v_cndmask_b32_e64 v13, 0, 1, vcc_lo
	v_add_nc_u32_e32 v60, v61, v60
	v_cmp_lt_i32_e32 vcc_lo, v11, v73
	v_cndmask_b32_e64 v2, 0, 1, s17
	v_cndmask_b32_e64 v4, 0, 1, s18
	v_lshlrev_b32_e32 v3, 2, v3
	v_lshlrev_b32_e32 v0, 1, v0
	v_cndmask_b32_e64 v1, 0, 1, s21
	v_cndmask_b32_e64 v8, 0, 1, vcc_lo
	v_lshlrev_b32_e32 v2, 4, v2
	v_lshlrev_b32_e32 v4, 3, v4
	v_cmp_lt_i32_e32 vcc_lo, v60, v73
	v_or3_b32 v0, v0, v1, v3
	v_add_nc_u32_e32 v1, v59, v58
	v_cndmask_b32_e64 v5, 0, 1, s16
	v_add_nc_u32_e32 v3, v14, v12
	v_add_nc_u32_e32 v62, v63, v62
	v_or3_b32 v0, v0, v4, v2
	v_cndmask_b32_e64 v2, 0, 1, vcc_lo
	v_cmp_lt_i32_e32 vcc_lo, v1, v73
	v_lshlrev_b32_e32 v6, 6, v8
	v_lshlrev_b32_e32 v5, 5, v5
	v_add_nc_u32_e32 v66, v67, v66
	v_lshlrev_b32_e32 v2, 9, v2
	v_cndmask_b32_e64 v1, 0, 1, vcc_lo
	v_cmp_lt_i32_e32 vcc_lo, v3, v73
	v_or3_b32 v63, v0, v5, v6
	v_lshlrev_b32_e32 v4, 11, v13
	s_cmp_lg_u32 s30, 0
	v_lshlrev_b32_e32 v1, 8, v1
	v_cndmask_b32_e64 v0, 0, 1, vcc_lo
	v_cmp_lt_i32_e32 vcc_lo, v62, v73
	s_waitcnt lgkmcnt(0)
	s_barrier
	buffer_gl0_inv
	v_lshl_or_b32 v62, v0, 7, v63
	v_cndmask_b32_e64 v3, 0, 1, vcc_lo
	v_cmp_lt_i32_e32 vcc_lo, v66, v73
	s_delay_alu instid0(VALU_DEP_3) | instskip(NEXT) | instid1(VALU_DEP_3)
	v_or3_b32 v61, v1, v2, v62
	v_lshlrev_b32_e32 v3, 10, v3
	v_cndmask_b32_e64 v0, 0, 1, vcc_lo
	v_cmp_lt_i32_e32 vcc_lo, v69, v73
	v_lshlrev_b32_e32 v2, 13, v65
	s_delay_alu instid0(VALU_DEP_4) | instskip(NEXT) | instid1(VALU_DEP_4)
	v_or3_b32 v60, v3, v4, v61
	v_lshlrev_b32_e32 v0, 12, v0
	v_cndmask_b32_e64 v1, 0, 1, vcc_lo
	v_lshlrev_b32_e32 v3, 15, v70
	s_delay_alu instid0(VALU_DEP_3) | instskip(NEXT) | instid1(VALU_DEP_3)
	v_or3_b32 v59, v0, v2, v60
	v_lshlrev_b32_e32 v1, 14, v1
	s_delay_alu instid0(VALU_DEP_1) | instskip(NEXT) | instid1(VALU_DEP_1)
	v_or3_b32 v58, v1, v3, v59
	v_bcnt_u32_b32 v8, v58, 0
	s_cbranch_scc0 .LBB21_193
; %bb.132:
	v_mbcnt_lo_u32_b32 v64, -1, 0
	s_delay_alu instid0(VALU_DEP_2)
	v_mov_b32_dpp v6, v8 row_shr:1 row_mask:0xf bank_mask:0xf
	v_mov_b32_dpp v5, v9 row_shr:1 row_mask:0xf bank_mask:0xf
	v_mov_b32_e32 v2, v9
	v_dual_mov_b32 v0, v8 :: v_dual_mov_b32 v1, v9
	v_dual_mov_b32 v3, v8 :: v_dual_and_b32 v4, 15, v64
	s_mov_b32 s22, exec_lo
	s_delay_alu instid0(VALU_DEP_1)
	v_cmpx_ne_u32_e32 0, v4
; %bb.133:
	v_add_co_u32 v3, s31, v6, v8
	s_delay_alu instid0(VALU_DEP_1) | instskip(NEXT) | instid1(VALU_DEP_2)
	v_add_co_ci_u32_e64 v0, null, 0, 0, s31
	v_add_co_u32 v1, vcc_lo, 0, v3
	s_delay_alu instid0(VALU_DEP_2) | instskip(NEXT) | instid1(VALU_DEP_2)
	v_add_co_ci_u32_e32 v2, vcc_lo, v5, v0, vcc_lo
	v_mov_b32_e32 v0, v1
	s_delay_alu instid0(VALU_DEP_2)
	v_mov_b32_e32 v1, v2
; %bb.134:
	s_or_b32 exec_lo, exec_lo, s22
	v_mov_b32_dpp v6, v3 row_shr:2 row_mask:0xf bank_mask:0xf
	v_mov_b32_dpp v5, v2 row_shr:2 row_mask:0xf bank_mask:0xf
	s_mov_b32 s22, exec_lo
	v_cmpx_lt_u32_e32 1, v4
; %bb.135:
	s_delay_alu instid0(VALU_DEP_3) | instskip(SKIP_1) | instid1(VALU_DEP_2)
	v_add_co_u32 v3, vcc_lo, v0, v6
	v_add_co_ci_u32_e32 v0, vcc_lo, 0, v1, vcc_lo
	v_add_co_u32 v1, vcc_lo, 0, v3
	s_delay_alu instid0(VALU_DEP_2) | instskip(NEXT) | instid1(VALU_DEP_2)
	v_add_co_ci_u32_e32 v2, vcc_lo, v5, v0, vcc_lo
	v_mov_b32_e32 v0, v1
	s_delay_alu instid0(VALU_DEP_2)
	v_mov_b32_e32 v1, v2
; %bb.136:
	s_or_b32 exec_lo, exec_lo, s22
	v_mov_b32_dpp v6, v3 row_shr:4 row_mask:0xf bank_mask:0xf
	v_mov_b32_dpp v5, v2 row_shr:4 row_mask:0xf bank_mask:0xf
	s_mov_b32 s22, exec_lo
	v_cmpx_lt_u32_e32 3, v4
; %bb.137:
	s_delay_alu instid0(VALU_DEP_3) | instskip(SKIP_1) | instid1(VALU_DEP_2)
	v_add_co_u32 v3, vcc_lo, v0, v6
	v_add_co_ci_u32_e32 v0, vcc_lo, 0, v1, vcc_lo
	;; [unrolled: 16-line block ×3, first 2 shown]
	v_add_co_u32 v0, vcc_lo, 0, v3
	s_delay_alu instid0(VALU_DEP_2) | instskip(NEXT) | instid1(VALU_DEP_1)
	v_add_co_ci_u32_e32 v1, vcc_lo, v5, v1, vcc_lo
	v_mov_b32_e32 v2, v1
; %bb.140:
	s_or_b32 exec_lo, exec_lo, s22
	ds_swizzle_b32 v4, v3 offset:swizzle(BROADCAST,32,15)
	ds_swizzle_b32 v2, v2 offset:swizzle(BROADCAST,32,15)
	v_and_b32_e32 v5, 16, v64
	s_mov_b32 s22, exec_lo
	s_delay_alu instid0(VALU_DEP_1)
	v_cmpx_ne_u32_e32 0, v5
	s_cbranch_execz .LBB21_142
; %bb.141:
	s_waitcnt lgkmcnt(1)
	v_add_co_u32 v3, vcc_lo, v0, v4
	v_add_co_ci_u32_e32 v1, vcc_lo, 0, v1, vcc_lo
	s_delay_alu instid0(VALU_DEP_2) | instskip(SKIP_1) | instid1(VALU_DEP_2)
	v_add_co_u32 v0, vcc_lo, 0, v3
	s_waitcnt lgkmcnt(0)
	v_add_co_ci_u32_e32 v1, vcc_lo, v2, v1, vcc_lo
.LBB21_142:
	s_or_b32 exec_lo, exec_lo, s22
	s_waitcnt lgkmcnt(0)
	v_and_b32_e32 v2, 0x3e0, v16
	v_lshrrev_b32_e32 v4, 5, v16
	s_delay_alu instid0(VALU_DEP_2) | instskip(NEXT) | instid1(VALU_DEP_1)
	v_min_u32_e32 v2, 0xe0, v2
	v_or_b32_e32 v2, 31, v2
	s_delay_alu instid0(VALU_DEP_1) | instskip(NEXT) | instid1(VALU_DEP_4)
	v_cmp_eq_u32_e32 vcc_lo, v2, v16
	v_lshlrev_b32_e32 v2, 3, v4
	s_and_saveexec_b32 s22, vcc_lo
	s_cbranch_execz .LBB21_144
; %bb.143:
	ds_store_b64 v2, v[0:1] offset:18432
.LBB21_144:
	s_or_b32 exec_lo, exec_lo, s22
	s_delay_alu instid0(SALU_CYCLE_1)
	s_mov_b32 s22, exec_lo
	s_waitcnt lgkmcnt(0)
	s_barrier
	buffer_gl0_inv
	v_cmpx_gt_u32_e32 8, v16
	s_cbranch_execz .LBB21_152
; %bb.145:
	v_lshlrev_b32_e32 v5, 3, v16
	v_and_b32_e32 v4, 7, v64
	s_mov_b32 s31, exec_lo
	ds_load_b64 v[0:1], v5 offset:18432
	s_waitcnt lgkmcnt(0)
	v_mov_b32_e32 v6, v0
	v_mov_b32_dpp v10, v0 row_shr:1 row_mask:0xf bank_mask:0xf
	v_mov_b32_dpp v7, v1 row_shr:1 row_mask:0xf bank_mask:0xf
	v_cmpx_ne_u32_e32 0, v4
; %bb.146:
	s_delay_alu instid0(VALU_DEP_3) | instskip(SKIP_1) | instid1(VALU_DEP_2)
	v_add_co_u32 v6, vcc_lo, v0, v10
	v_add_co_ci_u32_e32 v1, vcc_lo, 0, v1, vcc_lo
	v_add_co_u32 v0, vcc_lo, 0, v6
	s_delay_alu instid0(VALU_DEP_2)
	v_add_co_ci_u32_e32 v1, vcc_lo, v7, v1, vcc_lo
; %bb.147:
	s_or_b32 exec_lo, exec_lo, s31
	v_mov_b32_dpp v10, v6 row_shr:2 row_mask:0xf bank_mask:0xf
	s_delay_alu instid0(VALU_DEP_2)
	v_mov_b32_dpp v7, v1 row_shr:2 row_mask:0xf bank_mask:0xf
	s_mov_b32 s31, exec_lo
	v_cmpx_lt_u32_e32 1, v4
; %bb.148:
	s_delay_alu instid0(VALU_DEP_3) | instskip(SKIP_1) | instid1(VALU_DEP_2)
	v_add_co_u32 v6, vcc_lo, v0, v10
	v_add_co_ci_u32_e32 v1, vcc_lo, 0, v1, vcc_lo
	v_add_co_u32 v0, vcc_lo, 0, v6
	s_delay_alu instid0(VALU_DEP_2)
	v_add_co_ci_u32_e32 v1, vcc_lo, v7, v1, vcc_lo
; %bb.149:
	s_or_b32 exec_lo, exec_lo, s31
	v_add_nc_u32_e32 v5, 0x4800, v5
	v_mov_b32_dpp v7, v6 row_shr:4 row_mask:0xf bank_mask:0xf
	s_delay_alu instid0(VALU_DEP_3)
	v_mov_b32_dpp v6, v1 row_shr:4 row_mask:0xf bank_mask:0xf
	s_mov_b32 s31, exec_lo
	v_cmpx_lt_u32_e32 3, v4
; %bb.150:
	s_delay_alu instid0(VALU_DEP_3) | instskip(SKIP_1) | instid1(VALU_DEP_2)
	v_add_co_u32 v0, vcc_lo, v0, v7
	v_add_co_ci_u32_e32 v1, vcc_lo, 0, v1, vcc_lo
	v_add_co_u32 v0, vcc_lo, v0, 0
	s_delay_alu instid0(VALU_DEP_2)
	v_add_co_ci_u32_e32 v1, vcc_lo, v1, v6, vcc_lo
; %bb.151:
	s_or_b32 exec_lo, exec_lo, s31
	ds_store_b64 v5, v[0:1]
.LBB21_152:
	s_or_b32 exec_lo, exec_lo, s22
	v_cmp_gt_u32_e32 vcc_lo, 32, v16
	s_mov_b32 s31, exec_lo
	s_waitcnt lgkmcnt(0)
	s_barrier
	buffer_gl0_inv
                                        ; implicit-def: $vgpr10_vgpr11
	v_cmpx_lt_u32_e32 31, v16
	s_cbranch_execz .LBB21_154
; %bb.153:
	ds_load_b64 v[10:11], v2 offset:18424
	s_waitcnt lgkmcnt(0)
	v_add_nc_u32_e32 v3, v3, v10
.LBB21_154:
	s_or_b32 exec_lo, exec_lo, s31
	v_add_nc_u32_e32 v0, -1, v64
	s_delay_alu instid0(VALU_DEP_1) | instskip(NEXT) | instid1(VALU_DEP_1)
	v_cmp_gt_i32_e64 s22, 0, v0
	v_cndmask_b32_e64 v0, v0, v64, s22
	v_cmp_eq_u32_e64 s22, 0, v64
	s_delay_alu instid0(VALU_DEP_2)
	v_lshlrev_b32_e32 v0, 2, v0
	ds_bpermute_b32 v65, v0, v3
	s_and_saveexec_b32 s31, vcc_lo
	s_cbranch_execz .LBB21_192
; %bb.155:
	v_mov_b32_e32 v3, 0
	ds_load_b64 v[0:1], v3 offset:18488
	s_and_saveexec_b32 s33, s22
	s_cbranch_execz .LBB21_157
; %bb.156:
	s_add_i32 s34, s30, 32
	s_mov_b32 s35, 0
	s_delay_alu instid0(SALU_CYCLE_1) | instskip(NEXT) | instid1(SALU_CYCLE_1)
	s_lshl_b64 s[34:35], s[34:35], 4
	s_add_u32 s34, s28, s34
	s_addc_u32 s35, s29, s35
	v_mov_b32_e32 v4, s34
	v_dual_mov_b32 v2, 1 :: v_dual_mov_b32 v5, s35
	s_waitcnt lgkmcnt(0)
	;;#ASMSTART
	global_store_dwordx4 v[4:5], v[0:3] off	
s_waitcnt vmcnt(0)
	;;#ASMEND
.LBB21_157:
	s_or_b32 exec_lo, exec_lo, s33
	v_xad_u32 v11, v64, -1, s30
	s_mov_b32 s34, 0
	s_mov_b32 s33, exec_lo
	s_delay_alu instid0(VALU_DEP_1) | instskip(NEXT) | instid1(VALU_DEP_1)
	v_add_nc_u32_e32 v2, 32, v11
	v_lshlrev_b64 v[2:3], 4, v[2:3]
	s_delay_alu instid0(VALU_DEP_1) | instskip(NEXT) | instid1(VALU_DEP_2)
	v_add_co_u32 v2, vcc_lo, s28, v2
	v_add_co_ci_u32_e32 v3, vcc_lo, s29, v3, vcc_lo
	;;#ASMSTART
	global_load_dwordx4 v[4:7], v[2:3] off glc	
s_waitcnt vmcnt(0)
	;;#ASMEND
	v_and_b32_e32 v7, 0xff, v5
	v_and_b32_e32 v12, 0xff00, v5
	;; [unrolled: 1-line block ×3, first 2 shown]
	v_or3_b32 v4, v4, 0, 0
	v_and_b32_e32 v5, 0xff000000, v5
	s_delay_alu instid0(VALU_DEP_4) | instskip(SKIP_1) | instid1(VALU_DEP_4)
	v_or3_b32 v7, 0, v7, v12
	v_and_b32_e32 v12, 0xff, v6
	v_or3_b32 v4, v4, 0, 0
	s_delay_alu instid0(VALU_DEP_3) | instskip(NEXT) | instid1(VALU_DEP_3)
	v_or3_b32 v5, v7, v13, v5
	v_cmpx_eq_u16_e32 0, v12
	s_cbranch_execz .LBB21_160
.LBB21_158:                             ; =>This Inner Loop Header: Depth=1
	;;#ASMSTART
	global_load_dwordx4 v[4:7], v[2:3] off glc	
s_waitcnt vmcnt(0)
	;;#ASMEND
	v_and_b32_e32 v7, 0xff, v6
	s_delay_alu instid0(VALU_DEP_1) | instskip(SKIP_1) | instid1(SALU_CYCLE_1)
	v_cmp_ne_u16_e32 vcc_lo, 0, v7
	s_or_b32 s34, vcc_lo, s34
	s_and_not1_b32 exec_lo, exec_lo, s34
	s_cbranch_execnz .LBB21_158
; %bb.159:
	s_or_b32 exec_lo, exec_lo, s34
.LBB21_160:
	s_delay_alu instid0(SALU_CYCLE_1)
	s_or_b32 exec_lo, exec_lo, s33
	v_cmp_ne_u32_e32 vcc_lo, 31, v64
	v_and_b32_e32 v3, 0xff, v6
	v_lshlrev_b32_e64 v67, v64, -1
	s_mov_b32 s33, exec_lo
	v_add_co_ci_u32_e32 v2, vcc_lo, 0, v64, vcc_lo
	s_delay_alu instid0(VALU_DEP_3) | instskip(NEXT) | instid1(VALU_DEP_2)
	v_cmp_eq_u16_e32 vcc_lo, 2, v3
	v_dual_mov_b32 v3, v4 :: v_dual_lshlrev_b32 v66, 2, v2
	v_and_or_b32 v2, vcc_lo, v67, 0x80000000
	ds_bpermute_b32 v12, v66, v4
	ds_bpermute_b32 v7, v66, v5
	v_ctz_i32_b32_e32 v2, v2
	s_delay_alu instid0(VALU_DEP_1)
	v_cmpx_lt_u32_e64 v64, v2
	s_cbranch_execz .LBB21_162
; %bb.161:
	s_waitcnt lgkmcnt(1)
	v_add_co_u32 v3, vcc_lo, v4, v12
	v_add_co_ci_u32_e32 v5, vcc_lo, 0, v5, vcc_lo
	s_delay_alu instid0(VALU_DEP_2) | instskip(SKIP_1) | instid1(VALU_DEP_2)
	v_add_co_u32 v4, vcc_lo, 0, v3
	s_waitcnt lgkmcnt(0)
	v_add_co_ci_u32_e32 v5, vcc_lo, v7, v5, vcc_lo
.LBB21_162:
	s_or_b32 exec_lo, exec_lo, s33
	v_cmp_gt_u32_e32 vcc_lo, 30, v64
	v_add_nc_u32_e32 v69, 2, v64
	s_mov_b32 s33, exec_lo
	s_waitcnt lgkmcnt(0)
	v_cndmask_b32_e64 v7, 0, 1, vcc_lo
	s_delay_alu instid0(VALU_DEP_1) | instskip(NEXT) | instid1(VALU_DEP_1)
	v_lshlrev_b32_e32 v7, 1, v7
	v_add_lshl_u32 v68, v7, v64, 2
	ds_bpermute_b32 v12, v68, v3
	ds_bpermute_b32 v7, v68, v5
	v_cmpx_le_u32_e64 v69, v2
	s_cbranch_execz .LBB21_164
; %bb.163:
	s_waitcnt lgkmcnt(1)
	v_add_co_u32 v3, vcc_lo, v4, v12
	v_add_co_ci_u32_e32 v5, vcc_lo, 0, v5, vcc_lo
	s_delay_alu instid0(VALU_DEP_2) | instskip(SKIP_1) | instid1(VALU_DEP_2)
	v_add_co_u32 v4, vcc_lo, 0, v3
	s_waitcnt lgkmcnt(0)
	v_add_co_ci_u32_e32 v5, vcc_lo, v7, v5, vcc_lo
.LBB21_164:
	s_or_b32 exec_lo, exec_lo, s33
	v_cmp_gt_u32_e32 vcc_lo, 28, v64
	v_add_nc_u32_e32 v71, 4, v64
	s_mov_b32 s33, exec_lo
	s_waitcnt lgkmcnt(0)
	v_cndmask_b32_e64 v7, 0, 1, vcc_lo
	s_delay_alu instid0(VALU_DEP_1) | instskip(NEXT) | instid1(VALU_DEP_1)
	v_lshlrev_b32_e32 v7, 2, v7
	v_add_lshl_u32 v70, v7, v64, 2
	ds_bpermute_b32 v12, v70, v3
	ds_bpermute_b32 v7, v70, v5
	v_cmpx_le_u32_e64 v71, v2
	;; [unrolled: 22-line block ×4, first 2 shown]
	s_cbranch_execz .LBB21_170
; %bb.169:
	s_waitcnt lgkmcnt(1)
	v_add_co_u32 v2, vcc_lo, v4, v7
	v_add_co_ci_u32_e32 v5, vcc_lo, 0, v5, vcc_lo
	s_delay_alu instid0(VALU_DEP_2) | instskip(SKIP_1) | instid1(VALU_DEP_2)
	v_add_co_u32 v4, vcc_lo, v2, 0
	s_waitcnt lgkmcnt(0)
	v_add_co_ci_u32_e32 v5, vcc_lo, v5, v3, vcc_lo
.LBB21_170:
	s_or_b32 exec_lo, exec_lo, s33
	v_mov_b32_e32 v12, 0
	s_branch .LBB21_172
.LBB21_171:                             ;   in Loop: Header=BB21_172 Depth=1
	s_or_b32 exec_lo, exec_lo, s33
	v_add_co_u32 v4, vcc_lo, v4, v2
	v_subrev_nc_u32_e32 v11, 32, v11
	v_add_co_ci_u32_e32 v5, vcc_lo, v5, v3, vcc_lo
.LBB21_172:                             ; =>This Loop Header: Depth=1
                                        ;     Child Loop BB21_175 Depth 2
	v_and_b32_e32 v2, 0xff, v6
	s_delay_alu instid0(VALU_DEP_1) | instskip(SKIP_2) | instid1(VALU_DEP_1)
	v_cmp_ne_u16_e32 vcc_lo, 2, v2
	v_cndmask_b32_e64 v2, 0, 1, vcc_lo
	;;#ASMSTART
	;;#ASMEND
	v_cmp_ne_u32_e32 vcc_lo, 0, v2
	s_waitcnt lgkmcnt(0)
	v_dual_mov_b32 v2, v4 :: v_dual_mov_b32 v3, v5
	s_cmp_lg_u32 vcc_lo, exec_lo
	s_cbranch_scc1 .LBB21_187
; %bb.173:                              ;   in Loop: Header=BB21_172 Depth=1
	v_lshlrev_b64 v[4:5], 4, v[11:12]
	s_mov_b32 s33, exec_lo
	s_delay_alu instid0(VALU_DEP_1) | instskip(NEXT) | instid1(VALU_DEP_2)
	v_add_co_u32 v13, vcc_lo, s28, v4
	v_add_co_ci_u32_e32 v14, vcc_lo, s29, v5, vcc_lo
	;;#ASMSTART
	global_load_dwordx4 v[4:7], v[13:14] off glc	
s_waitcnt vmcnt(0)
	;;#ASMEND
	v_and_b32_e32 v7, 0xff, v5
	v_and_b32_e32 v76, 0xff00, v5
	v_and_b32_e32 v77, 0xff0000, v5
	v_or3_b32 v4, v4, 0, 0
	v_and_b32_e32 v5, 0xff000000, v5
	s_delay_alu instid0(VALU_DEP_4) | instskip(SKIP_1) | instid1(VALU_DEP_4)
	v_or3_b32 v7, 0, v7, v76
	v_and_b32_e32 v76, 0xff, v6
	v_or3_b32 v4, v4, 0, 0
	s_delay_alu instid0(VALU_DEP_3) | instskip(NEXT) | instid1(VALU_DEP_3)
	v_or3_b32 v5, v7, v77, v5
	v_cmpx_eq_u16_e32 0, v76
	s_cbranch_execz .LBB21_177
; %bb.174:                              ;   in Loop: Header=BB21_172 Depth=1
	s_mov_b32 s34, 0
.LBB21_175:                             ;   Parent Loop BB21_172 Depth=1
                                        ; =>  This Inner Loop Header: Depth=2
	;;#ASMSTART
	global_load_dwordx4 v[4:7], v[13:14] off glc	
s_waitcnt vmcnt(0)
	;;#ASMEND
	v_and_b32_e32 v7, 0xff, v6
	s_delay_alu instid0(VALU_DEP_1) | instskip(SKIP_1) | instid1(SALU_CYCLE_1)
	v_cmp_ne_u16_e32 vcc_lo, 0, v7
	s_or_b32 s34, vcc_lo, s34
	s_and_not1_b32 exec_lo, exec_lo, s34
	s_cbranch_execnz .LBB21_175
; %bb.176:                              ;   in Loop: Header=BB21_172 Depth=1
	s_or_b32 exec_lo, exec_lo, s34
.LBB21_177:                             ;   in Loop: Header=BB21_172 Depth=1
	s_delay_alu instid0(SALU_CYCLE_1)
	s_or_b32 exec_lo, exec_lo, s33
	v_and_b32_e32 v7, 0xff, v6
	ds_bpermute_b32 v76, v66, v4
	ds_bpermute_b32 v14, v66, v5
	v_mov_b32_e32 v13, v4
	s_mov_b32 s33, exec_lo
	v_cmp_eq_u16_e32 vcc_lo, 2, v7
	v_and_or_b32 v7, vcc_lo, v67, 0x80000000
	s_delay_alu instid0(VALU_DEP_1) | instskip(NEXT) | instid1(VALU_DEP_1)
	v_ctz_i32_b32_e32 v7, v7
	v_cmpx_lt_u32_e64 v64, v7
	s_cbranch_execz .LBB21_179
; %bb.178:                              ;   in Loop: Header=BB21_172 Depth=1
	s_waitcnt lgkmcnt(1)
	v_add_co_u32 v13, vcc_lo, v4, v76
	v_add_co_ci_u32_e32 v5, vcc_lo, 0, v5, vcc_lo
	s_delay_alu instid0(VALU_DEP_2) | instskip(SKIP_1) | instid1(VALU_DEP_2)
	v_add_co_u32 v4, vcc_lo, 0, v13
	s_waitcnt lgkmcnt(0)
	v_add_co_ci_u32_e32 v5, vcc_lo, v14, v5, vcc_lo
.LBB21_179:                             ;   in Loop: Header=BB21_172 Depth=1
	s_or_b32 exec_lo, exec_lo, s33
	s_waitcnt lgkmcnt(1)
	ds_bpermute_b32 v76, v68, v13
	s_waitcnt lgkmcnt(1)
	ds_bpermute_b32 v14, v68, v5
	s_mov_b32 s33, exec_lo
	v_cmpx_le_u32_e64 v69, v7
	s_cbranch_execz .LBB21_181
; %bb.180:                              ;   in Loop: Header=BB21_172 Depth=1
	s_waitcnt lgkmcnt(1)
	v_add_co_u32 v13, vcc_lo, v4, v76
	v_add_co_ci_u32_e32 v5, vcc_lo, 0, v5, vcc_lo
	s_delay_alu instid0(VALU_DEP_2) | instskip(SKIP_1) | instid1(VALU_DEP_2)
	v_add_co_u32 v4, vcc_lo, 0, v13
	s_waitcnt lgkmcnt(0)
	v_add_co_ci_u32_e32 v5, vcc_lo, v14, v5, vcc_lo
.LBB21_181:                             ;   in Loop: Header=BB21_172 Depth=1
	s_or_b32 exec_lo, exec_lo, s33
	s_waitcnt lgkmcnt(1)
	ds_bpermute_b32 v76, v70, v13
	s_waitcnt lgkmcnt(1)
	ds_bpermute_b32 v14, v70, v5
	s_mov_b32 s33, exec_lo
	v_cmpx_le_u32_e64 v71, v7
	;; [unrolled: 17-line block ×3, first 2 shown]
	s_cbranch_execz .LBB21_185
; %bb.184:                              ;   in Loop: Header=BB21_172 Depth=1
	s_waitcnt lgkmcnt(1)
	v_add_co_u32 v13, vcc_lo, v4, v76
	v_add_co_ci_u32_e32 v5, vcc_lo, 0, v5, vcc_lo
	s_delay_alu instid0(VALU_DEP_2) | instskip(SKIP_1) | instid1(VALU_DEP_2)
	v_add_co_u32 v4, vcc_lo, 0, v13
	s_waitcnt lgkmcnt(0)
	v_add_co_ci_u32_e32 v5, vcc_lo, v14, v5, vcc_lo
.LBB21_185:                             ;   in Loop: Header=BB21_172 Depth=1
	s_or_b32 exec_lo, exec_lo, s33
	s_waitcnt lgkmcnt(0)
	ds_bpermute_b32 v14, v74, v13
	ds_bpermute_b32 v13, v74, v5
	s_mov_b32 s33, exec_lo
	v_cmpx_le_u32_e64 v75, v7
	s_cbranch_execz .LBB21_171
; %bb.186:                              ;   in Loop: Header=BB21_172 Depth=1
	s_waitcnt lgkmcnt(1)
	v_add_co_u32 v4, vcc_lo, v4, v14
	v_add_co_ci_u32_e32 v5, vcc_lo, 0, v5, vcc_lo
	s_delay_alu instid0(VALU_DEP_2) | instskip(SKIP_1) | instid1(VALU_DEP_2)
	v_add_co_u32 v4, vcc_lo, v4, 0
	s_waitcnt lgkmcnt(0)
	v_add_co_ci_u32_e32 v5, vcc_lo, v5, v13, vcc_lo
	s_branch .LBB21_171
.LBB21_187:                             ;   in Loop: Header=BB21_172 Depth=1
                                        ; implicit-def: $vgpr4_vgpr5
	s_cbranch_execz .LBB21_172
; %bb.188:
	s_and_saveexec_b32 s33, s22
	s_cbranch_execz .LBB21_190
; %bb.189:
	s_add_i32 s34, s30, 32
	s_mov_b32 s35, 0
	v_add_co_u32 v4, vcc_lo, v2, v0
	s_lshl_b64 s[34:35], s[34:35], 4
	v_dual_mov_b32 v6, 2 :: v_dual_mov_b32 v7, 0
	s_add_u32 s34, s28, s34
	s_addc_u32 s35, s29, s35
	v_add_co_ci_u32_e32 v5, vcc_lo, v3, v1, vcc_lo
	v_dual_mov_b32 v11, s34 :: v_dual_mov_b32 v12, s35
	;;#ASMSTART
	global_store_dwordx4 v[11:12], v[4:7] off	
s_waitcnt vmcnt(0)
	;;#ASMEND
	ds_store_b128 v7, v[0:3] offset:18496
.LBB21_190:
	s_or_b32 exec_lo, exec_lo, s33
	s_delay_alu instid0(SALU_CYCLE_1)
	s_and_b32 exec_lo, exec_lo, s0
	s_cbranch_execz .LBB21_192
; %bb.191:
	v_mov_b32_e32 v0, 0
	ds_store_b64 v0, v[2:3] offset:18488
.LBB21_192:
	s_or_b32 exec_lo, exec_lo, s31
	v_mov_b32_e32 v0, 0
	s_waitcnt lgkmcnt(0)
	s_barrier
	buffer_gl0_inv
	ds_load_b64 v[2:3], v0 offset:18488
	s_waitcnt lgkmcnt(0)
	s_barrier
	buffer_gl0_inv
	ds_load_b64 v[0:1], v0 offset:18504
	v_cndmask_b32_e64 v3, v65, v10, s22
	s_movk_i32 s22, 0x4840
	s_delay_alu instid0(VALU_DEP_1) | instskip(NEXT) | instid1(VALU_DEP_1)
	v_cndmask_b32_e64 v3, v3, 0, s0
	v_add_co_u32 v4, vcc_lo, v2, v3
	s_branch .LBB21_217
.LBB21_193:
                                        ; implicit-def: $vgpr0_vgpr1
                                        ; implicit-def: $sgpr22
                                        ; implicit-def: $vgpr4_vgpr5
	s_cbranch_execz .LBB21_217
; %bb.194:
	v_mbcnt_lo_u32_b32 v4, -1, 0
	v_mov_b32_e32 v2, 0
	v_mov_b32_dpp v6, v8 row_shr:1 row_mask:0xf bank_mask:0xf
	s_waitcnt lgkmcnt(0)
	v_dual_mov_b32 v0, v8 :: v_dual_mov_b32 v1, v9
	v_and_b32_e32 v3, 15, v4
	v_mov_b32_dpp v5, v2 row_shr:1 row_mask:0xf bank_mask:0xf
	s_mov_b32 s22, exec_lo
	s_delay_alu instid0(VALU_DEP_2)
	v_cmpx_ne_u32_e32 0, v3
; %bb.195:
	v_add_co_u32 v8, s31, v6, v8
	s_delay_alu instid0(VALU_DEP_1) | instskip(NEXT) | instid1(VALU_DEP_2)
	v_add_co_ci_u32_e64 v0, null, 0, 0, s31
	v_add_co_u32 v1, vcc_lo, 0, v8
	s_delay_alu instid0(VALU_DEP_2) | instskip(NEXT) | instid1(VALU_DEP_2)
	v_add_co_ci_u32_e32 v2, vcc_lo, v5, v0, vcc_lo
	v_mov_b32_e32 v0, v1
	s_delay_alu instid0(VALU_DEP_2)
	v_mov_b32_e32 v1, v2
; %bb.196:
	s_or_b32 exec_lo, exec_lo, s22
	v_mov_b32_dpp v6, v8 row_shr:2 row_mask:0xf bank_mask:0xf
	v_mov_b32_dpp v5, v2 row_shr:2 row_mask:0xf bank_mask:0xf
	s_mov_b32 s22, exec_lo
	v_cmpx_lt_u32_e32 1, v3
; %bb.197:
	s_delay_alu instid0(VALU_DEP_3) | instskip(SKIP_1) | instid1(VALU_DEP_2)
	v_add_co_u32 v8, vcc_lo, v0, v6
	v_add_co_ci_u32_e32 v0, vcc_lo, 0, v1, vcc_lo
	v_add_co_u32 v1, vcc_lo, 0, v8
	s_delay_alu instid0(VALU_DEP_2) | instskip(NEXT) | instid1(VALU_DEP_2)
	v_add_co_ci_u32_e32 v2, vcc_lo, v5, v0, vcc_lo
	v_mov_b32_e32 v0, v1
	s_delay_alu instid0(VALU_DEP_2)
	v_mov_b32_e32 v1, v2
; %bb.198:
	s_or_b32 exec_lo, exec_lo, s22
	v_mov_b32_dpp v6, v8 row_shr:4 row_mask:0xf bank_mask:0xf
	v_mov_b32_dpp v5, v2 row_shr:4 row_mask:0xf bank_mask:0xf
	s_mov_b32 s22, exec_lo
	v_cmpx_lt_u32_e32 3, v3
; %bb.199:
	s_delay_alu instid0(VALU_DEP_3) | instskip(SKIP_1) | instid1(VALU_DEP_2)
	v_add_co_u32 v8, vcc_lo, v0, v6
	v_add_co_ci_u32_e32 v0, vcc_lo, 0, v1, vcc_lo
	v_add_co_u32 v1, vcc_lo, 0, v8
	s_delay_alu instid0(VALU_DEP_2) | instskip(NEXT) | instid1(VALU_DEP_2)
	v_add_co_ci_u32_e32 v2, vcc_lo, v5, v0, vcc_lo
	v_mov_b32_e32 v0, v1
	s_delay_alu instid0(VALU_DEP_2)
	v_mov_b32_e32 v1, v2
; %bb.200:
	s_or_b32 exec_lo, exec_lo, s22
	v_mov_b32_dpp v6, v8 row_shr:8 row_mask:0xf bank_mask:0xf
	v_mov_b32_dpp v5, v2 row_shr:8 row_mask:0xf bank_mask:0xf
	s_mov_b32 s22, exec_lo
	v_cmpx_lt_u32_e32 7, v3
; %bb.201:
	s_delay_alu instid0(VALU_DEP_3) | instskip(SKIP_1) | instid1(VALU_DEP_2)
	v_add_co_u32 v8, vcc_lo, v0, v6
	v_add_co_ci_u32_e32 v1, vcc_lo, 0, v1, vcc_lo
	v_add_co_u32 v0, vcc_lo, 0, v8
	s_delay_alu instid0(VALU_DEP_2) | instskip(NEXT) | instid1(VALU_DEP_1)
	v_add_co_ci_u32_e32 v1, vcc_lo, v5, v1, vcc_lo
	v_mov_b32_e32 v2, v1
; %bb.202:
	s_or_b32 exec_lo, exec_lo, s22
	ds_swizzle_b32 v3, v8 offset:swizzle(BROADCAST,32,15)
	ds_swizzle_b32 v2, v2 offset:swizzle(BROADCAST,32,15)
	v_and_b32_e32 v5, 16, v4
	s_mov_b32 s22, exec_lo
	s_delay_alu instid0(VALU_DEP_1)
	v_cmpx_ne_u32_e32 0, v5
	s_cbranch_execz .LBB21_204
; %bb.203:
	s_waitcnt lgkmcnt(1)
	v_add_co_u32 v8, vcc_lo, v0, v3
	v_add_co_ci_u32_e32 v1, vcc_lo, 0, v1, vcc_lo
	s_delay_alu instid0(VALU_DEP_2) | instskip(SKIP_1) | instid1(VALU_DEP_2)
	v_add_co_u32 v0, vcc_lo, 0, v8
	s_waitcnt lgkmcnt(0)
	v_add_co_ci_u32_e32 v1, vcc_lo, v2, v1, vcc_lo
.LBB21_204:
	s_or_b32 exec_lo, exec_lo, s22
	s_waitcnt lgkmcnt(0)
	v_and_b32_e32 v2, 0x3e0, v16
	v_lshrrev_b32_e32 v3, 5, v16
	s_mov_b32 s22, exec_lo
	s_delay_alu instid0(VALU_DEP_2) | instskip(NEXT) | instid1(VALU_DEP_2)
	v_min_u32_e32 v2, 0xe0, v2
	v_lshlrev_b32_e32 v5, 3, v3
	s_delay_alu instid0(VALU_DEP_2) | instskip(NEXT) | instid1(VALU_DEP_1)
	v_or_b32_e32 v2, 31, v2
	v_cmpx_eq_u32_e64 v2, v16
	s_cbranch_execz .LBB21_206
; %bb.205:
	ds_store_b64 v5, v[0:1] offset:18432
.LBB21_206:
	s_or_b32 exec_lo, exec_lo, s22
	s_delay_alu instid0(SALU_CYCLE_1)
	s_mov_b32 s22, exec_lo
	s_waitcnt lgkmcnt(0)
	s_barrier
	buffer_gl0_inv
	v_cmpx_gt_u32_e32 8, v16
	s_cbranch_execz .LBB21_214
; %bb.207:
	v_lshlrev_b32_e32 v3, 3, v16
	v_and_b32_e32 v2, 7, v4
	s_mov_b32 s31, exec_lo
	ds_load_b64 v[0:1], v3 offset:18432
	s_waitcnt lgkmcnt(0)
	v_mov_b32_e32 v6, v0
	v_mov_b32_dpp v9, v0 row_shr:1 row_mask:0xf bank_mask:0xf
	v_mov_b32_dpp v7, v1 row_shr:1 row_mask:0xf bank_mask:0xf
	v_cmpx_ne_u32_e32 0, v2
; %bb.208:
	s_delay_alu instid0(VALU_DEP_3) | instskip(SKIP_1) | instid1(VALU_DEP_2)
	v_add_co_u32 v6, vcc_lo, v0, v9
	v_add_co_ci_u32_e32 v1, vcc_lo, 0, v1, vcc_lo
	v_add_co_u32 v0, vcc_lo, 0, v6
	s_delay_alu instid0(VALU_DEP_2)
	v_add_co_ci_u32_e32 v1, vcc_lo, v7, v1, vcc_lo
; %bb.209:
	s_or_b32 exec_lo, exec_lo, s31
	v_mov_b32_dpp v9, v6 row_shr:2 row_mask:0xf bank_mask:0xf
	s_delay_alu instid0(VALU_DEP_2)
	v_mov_b32_dpp v7, v1 row_shr:2 row_mask:0xf bank_mask:0xf
	s_mov_b32 s31, exec_lo
	v_cmpx_lt_u32_e32 1, v2
; %bb.210:
	s_delay_alu instid0(VALU_DEP_3) | instskip(SKIP_1) | instid1(VALU_DEP_2)
	v_add_co_u32 v6, vcc_lo, v0, v9
	v_add_co_ci_u32_e32 v1, vcc_lo, 0, v1, vcc_lo
	v_add_co_u32 v0, vcc_lo, 0, v6
	s_delay_alu instid0(VALU_DEP_2)
	v_add_co_ci_u32_e32 v1, vcc_lo, v7, v1, vcc_lo
; %bb.211:
	s_or_b32 exec_lo, exec_lo, s31
	v_add_nc_u32_e32 v3, 0x4800, v3
	v_mov_b32_dpp v7, v6 row_shr:4 row_mask:0xf bank_mask:0xf
	s_delay_alu instid0(VALU_DEP_3)
	v_mov_b32_dpp v6, v1 row_shr:4 row_mask:0xf bank_mask:0xf
	s_mov_b32 s31, exec_lo
	v_cmpx_lt_u32_e32 3, v2
; %bb.212:
	s_delay_alu instid0(VALU_DEP_3) | instskip(SKIP_1) | instid1(VALU_DEP_2)
	v_add_co_u32 v0, vcc_lo, v0, v7
	v_add_co_ci_u32_e32 v1, vcc_lo, 0, v1, vcc_lo
	v_add_co_u32 v0, vcc_lo, v0, 0
	s_delay_alu instid0(VALU_DEP_2)
	v_add_co_ci_u32_e32 v1, vcc_lo, v1, v6, vcc_lo
; %bb.213:
	s_or_b32 exec_lo, exec_lo, s31
	ds_store_b64 v3, v[0:1]
.LBB21_214:
	s_or_b32 exec_lo, exec_lo, s22
	v_mov_b32_e32 v0, 0
	v_mov_b32_e32 v1, 0
	s_mov_b32 s22, exec_lo
	s_waitcnt lgkmcnt(0)
	s_barrier
	buffer_gl0_inv
	v_dual_mov_b32 v3, v1 :: v_dual_mov_b32 v2, v0
	v_cmpx_lt_u32_e32 31, v16
	s_cbranch_execz .LBB21_216
; %bb.215:
	ds_load_b64 v[2:3], v5 offset:18424
.LBB21_216:
	s_or_b32 exec_lo, exec_lo, s22
	s_waitcnt lgkmcnt(0)
	v_add_nc_u32_e32 v3, -1, v4
	v_add_nc_u32_e32 v5, v8, v2
	s_movk_i32 s22, 0x4838
	s_delay_alu instid0(VALU_DEP_2) | instskip(SKIP_2) | instid1(VALU_DEP_2)
	v_cmp_gt_i32_e32 vcc_lo, 0, v3
	v_cndmask_b32_e32 v3, v3, v4, vcc_lo
	v_cmp_eq_u32_e32 vcc_lo, 0, v4
	v_lshlrev_b32_e32 v3, 2, v3
	ds_bpermute_b32 v3, v3, v5
	s_waitcnt lgkmcnt(0)
	v_cndmask_b32_e32 v4, v3, v2, vcc_lo
.LBB21_217:
	v_mov_b32_e32 v2, s22
	s_waitcnt lgkmcnt(0)
	s_delay_alu instid0(VALU_DEP_2)
	v_sub_nc_u32_e32 v4, v4, v0
	ds_load_b64 v[2:3], v2
	s_waitcnt lgkmcnt(0)
	s_barrier
	buffer_gl0_inv
	s_and_saveexec_b32 s22, s21
	s_cbranch_execnz .LBB21_263
; %bb.218:
	s_or_b32 exec_lo, exec_lo, s22
	s_and_saveexec_b32 s1, s20
	s_cbranch_execnz .LBB21_264
.LBB21_219:
	s_or_b32 exec_lo, exec_lo, s1
	s_and_saveexec_b32 s1, s19
	s_cbranch_execnz .LBB21_265
.LBB21_220:
	s_or_b32 exec_lo, exec_lo, s1
	s_and_saveexec_b32 s1, s18
	s_cbranch_execnz .LBB21_266
.LBB21_221:
	s_or_b32 exec_lo, exec_lo, s1
	s_and_saveexec_b32 s1, s17
	s_cbranch_execnz .LBB21_267
.LBB21_222:
	s_or_b32 exec_lo, exec_lo, s1
	s_and_saveexec_b32 s1, s16
	s_cbranch_execz .LBB21_224
.LBB21_223:
	v_cndmask_b32_e64 v5, v34, v35, s6
	v_lshlrev_b32_e32 v6, 2, v4
	v_add_nc_u32_e32 v4, 1, v4
	ds_store_b32 v6, v5 offset:19456
.LBB21_224:
	s_or_b32 exec_lo, exec_lo, s1
	v_and_b32_e32 v5, 64, v63
	s_mov_b32 s1, exec_lo
	s_delay_alu instid0(VALU_DEP_1)
	v_cmpx_ne_u32_e32 0, v5
	s_cbranch_execz .LBB21_226
; %bb.225:
	v_cndmask_b32_e64 v5, v36, v37, s7
	v_lshlrev_b32_e32 v6, 2, v4
	v_add_nc_u32_e32 v4, 1, v4
	ds_store_b32 v6, v5 offset:19456
.LBB21_226:
	s_or_b32 exec_lo, exec_lo, s1
	v_and_b32_e32 v5, 0x80, v62
	s_mov_b32 s1, exec_lo
	s_delay_alu instid0(VALU_DEP_1)
	v_cmpx_ne_u32_e32 0, v5
	s_cbranch_execz .LBB21_228
; %bb.227:
	v_cndmask_b32_e64 v5, v38, v39, s8
	v_lshlrev_b32_e32 v6, 2, v4
	v_add_nc_u32_e32 v4, 1, v4
	ds_store_b32 v6, v5 offset:19456
.LBB21_228:
	;; [unrolled: 12-line block ×9, first 2 shown]
	s_or_b32 exec_lo, exec_lo, s1
	v_and_b32_e32 v5, 0x8000, v58
	s_mov_b32 s3, exec_lo
	s_delay_alu instid0(VALU_DEP_1)
	v_cmpx_ne_u32_e32 0, v5
	s_cbranch_execz .LBB21_244
; %bb.243:
	v_cmp_lt_i32_e32 vcc_lo, v56, v54
	v_cmp_lt_i32_e64 s1, v57, v23
	v_cmp_ge_i32_e64 s2, v55, v15
	v_lshlrev_b32_e32 v4, 2, v4
	s_delay_alu instid0(VALU_DEP_3)
	s_and_b32 s1, s1, vcc_lo
	s_delay_alu instid0(VALU_DEP_2) | instid1(SALU_CYCLE_1)
	s_or_b32 vcc_lo, s2, s1
	v_cndmask_b32_e32 v5, v54, v56, vcc_lo
	ds_store_b32 v4, v5 offset:19456
.LBB21_244:
	s_or_b32 exec_lo, exec_lo, s3
	s_delay_alu instid0(SALU_CYCLE_1)
	s_mov_b32 s2, exec_lo
	s_waitcnt lgkmcnt(0)
	s_barrier
	buffer_gl0_inv
	v_cmpx_lt_i32_e64 v16, v2
	s_cbranch_execz .LBB21_247
; %bb.245:
	v_lshlrev_b64 v[4:5], 2, v[0:1]
	v_dual_mov_b32 v7, v16 :: v_dual_add_nc_u32 v6, 0x4c00, v22
	s_mov_b32 s3, 0
	s_delay_alu instid0(VALU_DEP_2) | instskip(NEXT) | instid1(VALU_DEP_3)
	v_add_co_u32 v4, vcc_lo, s24, v4
	v_add_co_ci_u32_e32 v5, vcc_lo, s25, v5, vcc_lo
	s_delay_alu instid0(VALU_DEP_2) | instskip(NEXT) | instid1(VALU_DEP_2)
	v_add_co_u32 v4, vcc_lo, v4, v22
	v_add_co_ci_u32_e32 v5, vcc_lo, 0, v5, vcc_lo
	.p2align	6
.LBB21_246:                             ; =>This Inner Loop Header: Depth=1
	ds_load_b32 v8, v6
	v_add_nc_u32_e32 v7, 0x100, v7
	v_add_nc_u32_e32 v6, 0x400, v6
	s_delay_alu instid0(VALU_DEP_2) | instskip(SKIP_4) | instid1(VALU_DEP_1)
	v_cmp_ge_i32_e32 vcc_lo, v7, v2
	s_or_b32 s3, vcc_lo, s3
	s_waitcnt lgkmcnt(0)
	global_store_b32 v[4:5], v8, off
	v_add_co_u32 v4, s1, 0x400, v4
	v_add_co_ci_u32_e64 v5, s1, 0, v5, s1
	s_and_not1_b32 exec_lo, exec_lo, s3
	s_cbranch_execnz .LBB21_246
.LBB21_247:
	s_or_b32 exec_lo, exec_lo, s2
	s_and_saveexec_b32 s1, s0
	s_cbranch_execz .LBB21_249
; %bb.248:
	v_add_co_u32 v0, vcc_lo, v2, v0
	v_mov_b32_e32 v4, 0
	v_add_co_ci_u32_e32 v1, vcc_lo, v3, v1, vcc_lo
	global_store_b64 v4, v[0:1], s[26:27]
.LBB21_249:
	s_or_b32 exec_lo, exec_lo, s1
	s_mov_b32 s0, 0
.LBB21_250:
	s_delay_alu instid0(SALU_CYCLE_1)
	s_and_b32 vcc_lo, exec_lo, s0
	s_cbranch_vccz .LBB21_470
; %bb.251:
	s_ashr_i32 s0, s23, 31
	v_sub_co_u32 v3, s1, v16, s23
	s_delay_alu instid0(VALU_DEP_1) | instskip(SKIP_3) | instid1(VALU_DEP_4)
	v_sub_co_ci_u32_e64 v4, null, 0, s0, s1
	v_subrev_nc_u32_e32 v0, s23, v16
	v_add_nc_u32_e32 v8, 0x200, v16
	v_or_b32_e32 v13, 0x400, v16
	v_lshlrev_b64 v[3:4], 2, v[3:4]
	v_add_nc_u32_e32 v10, 0x300, v16
	v_ashrrev_i32_e32 v1, 31, v0
	v_add_nc_u32_e32 v14, 0x500, v16
	v_subrev_nc_u32_e32 v9, s23, v13
	v_add_nc_u32_e32 v24, 0x600, v16
	v_add_co_u32 v11, s0, v18, v3
	s_delay_alu instid0(VALU_DEP_1) | instskip(SKIP_3) | instid1(VALU_DEP_3)
	v_add_co_ci_u32_e64 v12, s0, v19, v4, s0
	v_lshlrev_b32_e32 v2, 2, v16
	v_lshlrev_b64 v[5:6], 2, v[0:1]
	v_add_nc_u32_e32 v31, 0xe00, v16
	v_add_co_u32 v0, vcc_lo, v20, v2
	v_add_co_ci_u32_e32 v1, vcc_lo, 0, v21, vcc_lo
	s_delay_alu instid0(VALU_DEP_4) | instskip(SKIP_2) | instid1(VALU_DEP_2)
	v_add_co_u32 v5, vcc_lo, v18, v5
	v_add_co_ci_u32_e32 v6, vcc_lo, v19, v6, vcc_lo
	v_cmp_gt_i32_e32 vcc_lo, s23, v16
	v_dual_cndmask_b32 v4, v6, v1 :: v_dual_add_nc_u32 v7, 0x100, v16
	s_delay_alu instid0(VALU_DEP_4) | instskip(SKIP_1) | instid1(VALU_DEP_3)
	v_cndmask_b32_e32 v3, v5, v0, vcc_lo
	v_cmp_gt_i32_e32 vcc_lo, s23, v8
	v_cmp_gt_i32_e64 s0, s23, v7
	v_dual_cndmask_b32 v8, v12, v1 :: v_dual_cndmask_b32 v7, v11, v0
	v_cmp_gt_i32_e32 vcc_lo, s23, v10
	v_ashrrev_i32_e32 v10, 31, v9
	s_delay_alu instid0(VALU_DEP_4)
	v_cndmask_b32_e64 v6, v12, v1, s0
	v_cndmask_b32_e64 v5, v11, v0, s0
	global_load_b32 v3, v[3:4], off
	global_load_b32 v4, v[5:6], off offset:1024
	global_load_b32 v5, v[7:8], off offset:2048
	v_cndmask_b32_e32 v7, v12, v1, vcc_lo
	v_lshlrev_b32_e32 v12, 2, v13
	v_lshlrev_b64 v[8:9], 2, v[9:10]
	v_subrev_nc_u32_e32 v10, s23, v14
	v_cndmask_b32_e32 v6, v11, v0, vcc_lo
	s_delay_alu instid0(VALU_DEP_4) | instskip(NEXT) | instid1(VALU_DEP_3)
	v_add_co_u32 v15, vcc_lo, v20, v12
	v_ashrrev_i32_e32 v11, 31, v10
	v_add_co_ci_u32_e32 v12, vcc_lo, 0, v21, vcc_lo
	v_add_co_u32 v22, vcc_lo, v18, v8
	v_add_co_ci_u32_e32 v23, vcc_lo, v19, v9, vcc_lo
	s_delay_alu instid0(VALU_DEP_4) | instskip(SKIP_3) | instid1(VALU_DEP_4)
	v_lshlrev_b64 v[8:9], 2, v[10:11]
	v_add_co_u32 v10, s0, 0x1400, v0
	v_cmp_gt_i32_e32 vcc_lo, s23, v13
	v_add_co_ci_u32_e64 v13, s0, 0, v1, s0
	v_add_co_u32 v8, s0, v18, v8
	s_delay_alu instid0(VALU_DEP_1) | instskip(SKIP_3) | instid1(VALU_DEP_3)
	v_add_co_ci_u32_e64 v25, s0, v19, v9, s0
	v_cmp_gt_i32_e64 s0, s23, v14
	v_subrev_nc_u32_e32 v9, s23, v24
	v_dual_cndmask_b32 v12, v23, v12 :: v_dual_cndmask_b32 v11, v22, v15
	v_cndmask_b32_e64 v14, v25, v13, s0
	v_cndmask_b32_e64 v13, v8, v10, s0
	s_delay_alu instid0(VALU_DEP_4)
	v_ashrrev_i32_e32 v10, 31, v9
	global_load_b32 v6, v[6:7], off offset:3072
	global_load_b32 v7, v[11:12], off
	global_load_b32 v8, v[13:14], off
	v_add_co_u32 v13, vcc_lo, 0x1800, v0
	v_lshlrev_b64 v[9:10], 2, v[9:10]
	v_add_co_ci_u32_e32 v14, vcc_lo, 0, v1, vcc_lo
	v_or_b32_e32 v25, 0x800, v16
	s_delay_alu instid0(VALU_DEP_3) | instskip(NEXT) | instid1(VALU_DEP_4)
	v_add_co_u32 v22, vcc_lo, v18, v9
	v_add_co_ci_u32_e32 v23, vcc_lo, v19, v10, vcc_lo
	v_cmp_gt_i32_e32 vcc_lo, s23, v24
	v_add_nc_u32_e32 v15, 0x700, v16
	s_delay_alu instid0(VALU_DEP_1) | instskip(NEXT) | instid1(VALU_DEP_1)
	v_subrev_nc_u32_e32 v11, s23, v15
	v_ashrrev_i32_e32 v12, 31, v11
	s_delay_alu instid0(VALU_DEP_1) | instskip(SKIP_1) | instid1(VALU_DEP_1)
	v_lshlrev_b64 v[9:10], 2, v[11:12]
	v_add_co_u32 v12, s0, 0x1c00, v0
	v_add_co_ci_u32_e64 v24, s0, 0, v1, s0
	v_subrev_nc_u32_e32 v11, s23, v25
	s_delay_alu instid0(VALU_DEP_4) | instskip(NEXT) | instid1(VALU_DEP_1)
	v_add_co_u32 v26, s0, v18, v9
	v_add_co_ci_u32_e64 v27, s0, v19, v10, s0
	v_cndmask_b32_e32 v10, v23, v14, vcc_lo
	v_cmp_gt_i32_e64 s0, s23, v15
	v_cndmask_b32_e32 v9, v22, v13, vcc_lo
	v_lshlrev_b32_e32 v22, 2, v25
	s_delay_alu instid0(VALU_DEP_3) | instskip(SKIP_1) | instid1(VALU_DEP_3)
	v_cndmask_b32_e64 v13, v26, v12, s0
	v_ashrrev_i32_e32 v12, 31, v11
	v_add_co_u32 v22, vcc_lo, v20, v22
	v_add_co_ci_u32_e32 v23, vcc_lo, 0, v21, vcc_lo
	s_delay_alu instid0(VALU_DEP_3)
	v_lshlrev_b64 v[11:12], 2, v[11:12]
	v_cndmask_b32_e64 v14, v27, v24, s0
	global_load_b32 v9, v[9:10], off
	v_add_nc_u32_e32 v27, 0xa00, v16
	v_add_co_u32 v24, vcc_lo, v18, v11
	v_add_co_ci_u32_e32 v26, vcc_lo, v19, v12, vcc_lo
	v_cmp_gt_i32_e32 vcc_lo, s23, v25
	v_add_nc_u32_e32 v15, 0x900, v16
	global_load_b32 v10, v[13:14], off
	v_add_co_u32 v25, s0, 0x2400, v0
	s_delay_alu instid0(VALU_DEP_1) | instskip(SKIP_1) | instid1(VALU_DEP_1)
	v_add_co_ci_u32_e64 v28, s0, 0, v1, s0
	v_subrev_nc_u32_e32 v13, s23, v15
	v_ashrrev_i32_e32 v14, 31, v13
	s_delay_alu instid0(VALU_DEP_1) | instskip(SKIP_1) | instid1(VALU_DEP_1)
	v_lshlrev_b64 v[11:12], 2, v[13:14]
	v_subrev_nc_u32_e32 v13, s23, v27
	v_ashrrev_i32_e32 v14, 31, v13
	s_delay_alu instid0(VALU_DEP_3) | instskip(NEXT) | instid1(VALU_DEP_1)
	v_add_co_u32 v29, s0, v18, v11
	v_add_co_ci_u32_e64 v30, s0, v19, v12, s0
	v_cndmask_b32_e32 v12, v26, v23, vcc_lo
	v_cmp_gt_i32_e64 s0, s23, v15
	v_add_nc_u32_e32 v15, 0xb00, v16
	v_lshlrev_b64 v[13:14], 2, v[13:14]
	v_cndmask_b32_e32 v11, v24, v22, vcc_lo
	v_add_co_u32 v26, vcc_lo, 0x2800, v0
	s_delay_alu instid0(VALU_DEP_4)
	v_subrev_nc_u32_e32 v24, s23, v15
	v_cndmask_b32_e64 v23, v30, v28, s0
	v_add_co_ci_u32_e32 v28, vcc_lo, 0, v1, vcc_lo
	v_add_co_u32 v13, vcc_lo, v18, v13
	v_add_co_ci_u32_e32 v14, vcc_lo, v19, v14, vcc_lo
	v_cndmask_b32_e64 v22, v29, v25, s0
	v_ashrrev_i32_e32 v25, 31, v24
	v_cmp_gt_i32_e32 vcc_lo, s23, v27
	v_or_b32_e32 v27, 0xc00, v16
	global_load_b32 v11, v[11:12], off
	global_load_b32 v12, v[22:23], off
	v_lshlrev_b64 v[22:23], 2, v[24:25]
	v_cndmask_b32_e32 v14, v14, v28, vcc_lo
	v_subrev_nc_u32_e32 v24, s23, v27
	v_add_co_u32 v28, s0, 0x2c00, v0
	v_cndmask_b32_e32 v13, v13, v26, vcc_lo
	v_cmp_gt_i32_e32 vcc_lo, s23, v15
	s_delay_alu instid0(VALU_DEP_4)
	v_ashrrev_i32_e32 v25, 31, v24
	v_add_nc_u32_e32 v15, 0xd00, v16
	v_add_co_ci_u32_e64 v29, s0, 0, v1, s0
	v_add_co_u32 v30, s0, v18, v22
	v_lshlrev_b32_e32 v26, 2, v27
	v_add_co_ci_u32_e64 v22, s0, v19, v23, s0
	v_lshlrev_b64 v[23:24], 2, v[24:25]
	v_subrev_nc_u32_e32 v25, s23, v15
	s_delay_alu instid0(VALU_DEP_4) | instskip(NEXT) | instid1(VALU_DEP_4)
	v_add_co_u32 v20, s0, v20, v26
	v_cndmask_b32_e32 v22, v22, v29, vcc_lo
	v_add_co_ci_u32_e64 v29, s0, 0, v21, s0
	s_delay_alu instid0(VALU_DEP_4) | instskip(SKIP_1) | instid1(VALU_DEP_1)
	v_ashrrev_i32_e32 v26, 31, v25
	v_add_co_u32 v23, s0, v18, v23
	v_add_co_ci_u32_e64 v24, s0, v19, v24, s0
	v_cndmask_b32_e32 v21, v30, v28, vcc_lo
	v_cmp_gt_i32_e32 vcc_lo, s23, v27
	v_subrev_nc_u32_e32 v27, s23, v31
	v_lshlrev_b64 v[25:26], 2, v[25:26]
	v_dual_cndmask_b32 v23, v23, v20 :: v_dual_cndmask_b32 v24, v24, v29
	v_add_co_u32 v29, s0, 0x3400, v0
	s_delay_alu instid0(VALU_DEP_4) | instskip(SKIP_2) | instid1(VALU_DEP_1)
	v_ashrrev_i32_e32 v28, 31, v27
	v_add_co_ci_u32_e64 v30, s0, 0, v1, s0
	v_add_co_u32 v32, s0, v18, v25
	v_add_co_ci_u32_e64 v33, s0, v19, v26, s0
	s_delay_alu instid0(VALU_DEP_4) | instskip(SKIP_2) | instid1(VALU_DEP_1)
	v_lshlrev_b64 v[25:26], 2, v[27:28]
	v_cmp_gt_i32_e64 s0, s23, v15
	v_add_co_u32 v15, s1, 0x3800, v0
	v_add_co_ci_u32_e64 v27, s1, 0, v1, s1
	s_delay_alu instid0(VALU_DEP_4) | instskip(NEXT) | instid1(VALU_DEP_1)
	v_add_co_u32 v34, s1, v18, v25
	v_add_co_ci_u32_e64 v28, s1, v19, v26, s1
	v_cmp_gt_i32_e64 s1, s23, v31
	v_cndmask_b32_e64 v26, v33, v30, s0
	v_cndmask_b32_e64 v25, v32, v29, s0
	s_mov_b32 s0, exec_lo
	s_delay_alu instid0(VALU_DEP_3)
	v_cndmask_b32_e64 v28, v28, v27, s1
	v_cndmask_b32_e64 v27, v34, v15, s1
	global_load_b32 v13, v[13:14], off
	global_load_b32 v14, v[21:22], off
	;; [unrolled: 1-line block ×5, first 2 shown]
	v_add_nc_u32_e32 v24, 0xf00, v16
	v_add_nc_u32_e32 v22, s23, v17
                                        ; implicit-def: $vgpr23
	s_delay_alu instid0(VALU_DEP_1)
	v_cmpx_lt_i32_e64 v24, v22
	s_cbranch_execz .LBB21_253
; %bb.252:
	v_subrev_nc_u32_e32 v25, s23, v24
	v_add_co_u32 v0, vcc_lo, 0x3c00, v0
	v_add_co_ci_u32_e32 v1, vcc_lo, 0, v1, vcc_lo
	s_delay_alu instid0(VALU_DEP_3) | instskip(NEXT) | instid1(VALU_DEP_1)
	v_ashrrev_i32_e32 v26, 31, v25
	v_lshlrev_b64 v[25:26], 2, v[25:26]
	s_delay_alu instid0(VALU_DEP_1) | instskip(NEXT) | instid1(VALU_DEP_2)
	v_add_co_u32 v18, vcc_lo, v18, v25
	v_add_co_ci_u32_e32 v19, vcc_lo, v19, v26, vcc_lo
	v_cmp_gt_i32_e32 vcc_lo, s23, v24
	s_delay_alu instid0(VALU_DEP_2)
	v_dual_cndmask_b32 v1, v19, v1 :: v_dual_cndmask_b32 v0, v18, v0
	global_load_b32 v23, v[0:1], off
.LBB21_253:
	s_or_b32 exec_lo, exec_lo, s0
	v_lshlrev_b32_e32 v0, 4, v16
	s_waitcnt vmcnt(13)
	ds_store_2addr_stride64_b32 v2, v3, v4 offset0:4 offset1:8
	s_waitcnt vmcnt(11)
	ds_store_2addr_stride64_b32 v2, v5, v6 offset0:12 offset1:16
	;; [unrolled: 2-line block ×4, first 2 shown]
	s_lshl_b32 s2, s23, 2
	s_mov_b32 s0, exec_lo
	s_waitcnt vmcnt(5)
	ds_store_2addr_stride64_b32 v2, v11, v12 offset0:36 offset1:40
	s_waitcnt vmcnt(3)
	ds_store_2addr_stride64_b32 v2, v13, v14 offset0:44 offset1:48
	;; [unrolled: 2-line block ×4, first 2 shown]
	v_min_i32_e32 v1, v22, v0
	s_waitcnt lgkmcnt(0)
	s_waitcnt_vscnt null, 0x0
	s_barrier
	buffer_gl0_inv
	v_sub_nc_u32_e32 v0, v1, v17
	v_min_i32_e32 v3, s23, v1
	s_delay_alu instid0(VALU_DEP_2) | instskip(NEXT) | instid1(VALU_DEP_1)
	v_max_i32_e32 v0, 0, v0
	v_cmpx_lt_i32_e64 v0, v3
	s_cbranch_execz .LBB21_257
; %bb.254:
	v_lshlrev_b32_e32 v4, 2, v1
	s_mov_b32 s1, 0
	s_delay_alu instid0(VALU_DEP_1)
	v_add3_u32 v4, s2, v4, 0x400
	.p2align	6
.LBB21_255:                             ; =>This Inner Loop Header: Depth=1
	v_add_nc_u32_e32 v5, v3, v0
	s_delay_alu instid0(VALU_DEP_1) | instskip(NEXT) | instid1(VALU_DEP_1)
	v_ashrrev_i32_e32 v5, 1, v5
	v_not_b32_e32 v6, v5
	v_add_nc_u32_e32 v8, 1, v5
	v_lshlrev_b32_e32 v7, 2, v5
	s_delay_alu instid0(VALU_DEP_3)
	v_lshl_add_u32 v6, v6, 2, v4
	ds_load_b32 v7, v7 offset:1024
	ds_load_b32 v6, v6
	s_waitcnt lgkmcnt(0)
	v_cmp_lt_i32_e32 vcc_lo, v6, v7
	v_dual_cndmask_b32 v0, v8, v0 :: v_dual_cndmask_b32 v3, v3, v5
	s_delay_alu instid0(VALU_DEP_1) | instskip(SKIP_1) | instid1(SALU_CYCLE_1)
	v_cmp_ge_i32_e32 vcc_lo, v0, v3
	s_or_b32 s1, vcc_lo, s1
	s_and_not1_b32 exec_lo, exec_lo, s1
	s_cbranch_execnz .LBB21_255
; %bb.256:
	s_or_b32 exec_lo, exec_lo, s1
.LBB21_257:
	s_delay_alu instid0(SALU_CYCLE_1) | instskip(SKIP_3) | instid1(VALU_DEP_2)
	s_or_b32 exec_lo, exec_lo, s0
	v_sub_nc_u32_e32 v5, v1, v0
	v_mov_b32_e32 v4, 0
	s_mov_b32 s1, exec_lo
	v_cmpx_lt_i32_e64 v5, v17
	s_cbranch_execz .LBB21_292
; %bb.258:
	v_lshl_add_u32 v6, v5, 2, s2
	v_mov_b32_e32 v3, 0
	v_mov_b32_e32 v7, v0
	s_mov_b32 s0, exec_lo
	ds_load_b32 v4, v6 offset:1024
	v_cmpx_lt_i32_e32 0, v0
	s_cbranch_execnz .LBB21_268
; %bb.259:
	s_or_b32 exec_lo, exec_lo, s0
	s_delay_alu instid0(SALU_CYCLE_1)
	s_mov_b32 s0, exec_lo
	v_cmpx_lt_i32_e64 v3, v7
	s_cbranch_execnz .LBB21_269
.LBB21_260:
	s_or_b32 exec_lo, exec_lo, s0
	s_delay_alu instid0(SALU_CYCLE_1)
	s_mov_b32 s0, exec_lo
	v_cmpx_lt_i32_e64 v3, v7
	s_cbranch_execnz .LBB21_270
.LBB21_261:
	s_or_b32 exec_lo, exec_lo, s0
	s_delay_alu instid0(SALU_CYCLE_1)
	s_mov_b32 s0, exec_lo
	v_cmpx_lt_i32_e64 v3, v7
	s_cbranch_execnz .LBB21_271
.LBB21_262:
	s_or_b32 exec_lo, exec_lo, s0
	s_delay_alu instid0(SALU_CYCLE_1)
	s_mov_b32 s0, exec_lo
	v_cmpx_lt_i32_e64 v3, v7
	s_cbranch_execnz .LBB21_272
	s_branch .LBB21_275
.LBB21_263:
	v_add_nc_u32_e32 v5, 1, v4
	v_cndmask_b32_e64 v6, v24, v25, s1
	s_delay_alu instid0(VALU_DEP_2)
	v_dual_mov_b32 v4, v5 :: v_dual_lshlrev_b32 v7, 2, v4
	ds_store_b32 v7, v6 offset:19456
	s_or_b32 exec_lo, exec_lo, s22
	s_and_saveexec_b32 s1, s20
	s_cbranch_execz .LBB21_219
.LBB21_264:
	v_cndmask_b32_e64 v5, v26, v27, s2
	v_lshlrev_b32_e32 v6, 2, v4
	v_add_nc_u32_e32 v4, 1, v4
	ds_store_b32 v6, v5 offset:19456
	s_or_b32 exec_lo, exec_lo, s1
	s_and_saveexec_b32 s1, s19
	s_cbranch_execz .LBB21_220
.LBB21_265:
	v_cndmask_b32_e64 v5, v28, v29, s3
	v_lshlrev_b32_e32 v6, 2, v4
	v_add_nc_u32_e32 v4, 1, v4
	ds_store_b32 v6, v5 offset:19456
	s_or_b32 exec_lo, exec_lo, s1
	s_and_saveexec_b32 s1, s18
	s_cbranch_execz .LBB21_221
.LBB21_266:
	v_cndmask_b32_e64 v5, v30, v31, s4
	v_lshlrev_b32_e32 v6, 2, v4
	v_add_nc_u32_e32 v4, 1, v4
	ds_store_b32 v6, v5 offset:19456
	s_or_b32 exec_lo, exec_lo, s1
	s_and_saveexec_b32 s1, s17
	s_cbranch_execz .LBB21_222
.LBB21_267:
	v_cndmask_b32_e64 v5, v32, v33, s5
	v_lshlrev_b32_e32 v6, 2, v4
	v_add_nc_u32_e32 v4, 1, v4
	ds_store_b32 v6, v5 offset:19456
	s_or_b32 exec_lo, exec_lo, s1
	s_and_saveexec_b32 s1, s16
	s_cbranch_execnz .LBB21_223
	s_branch .LBB21_224
.LBB21_268:
	v_mul_lo_u32 v3, 0x1ff, v0
	s_delay_alu instid0(VALU_DEP_1) | instskip(NEXT) | instid1(VALU_DEP_1)
	v_ashrrev_i32_e32 v7, 9, v3
	v_lshlrev_b32_e32 v3, 2, v7
	ds_load_b32 v3, v3 offset:1024
	s_waitcnt lgkmcnt(0)
	v_cmp_lt_i32_e32 vcc_lo, v3, v4
	v_dual_cndmask_b32 v7, v7, v0 :: v_dual_add_nc_u32 v8, 1, v7
	s_delay_alu instid0(VALU_DEP_1) | instskip(SKIP_1) | instid1(SALU_CYCLE_1)
	v_cndmask_b32_e32 v3, 0, v8, vcc_lo
	s_or_b32 exec_lo, exec_lo, s0
	s_mov_b32 s0, exec_lo
	s_delay_alu instid0(VALU_DEP_1)
	v_cmpx_lt_i32_e64 v3, v7
	s_cbranch_execz .LBB21_260
.LBB21_269:
	v_sub_nc_u32_e32 v8, v3, v7
	s_delay_alu instid0(VALU_DEP_1) | instskip(NEXT) | instid1(VALU_DEP_1)
	v_lshl_add_u32 v8, v7, 7, v8
	v_ashrrev_i32_e32 v8, 7, v8
	s_delay_alu instid0(VALU_DEP_1) | instskip(SKIP_4) | instid1(VALU_DEP_1)
	v_lshlrev_b32_e32 v9, 2, v8
	ds_load_b32 v9, v9 offset:1024
	s_waitcnt lgkmcnt(0)
	v_cmp_lt_i32_e32 vcc_lo, v9, v4
	v_dual_cndmask_b32 v7, v8, v7 :: v_dual_add_nc_u32 v10, 1, v8
	v_cndmask_b32_e32 v3, v3, v10, vcc_lo
	s_or_b32 exec_lo, exec_lo, s0
	s_delay_alu instid0(SALU_CYCLE_1) | instskip(NEXT) | instid1(VALU_DEP_1)
	s_mov_b32 s0, exec_lo
	v_cmpx_lt_i32_e64 v3, v7
	s_cbranch_execz .LBB21_261
.LBB21_270:
	v_sub_nc_u32_e32 v8, v3, v7
	s_delay_alu instid0(VALU_DEP_1) | instskip(NEXT) | instid1(VALU_DEP_1)
	v_lshl_add_u32 v8, v7, 5, v8
	v_ashrrev_i32_e32 v8, 5, v8
	s_delay_alu instid0(VALU_DEP_1) | instskip(SKIP_4) | instid1(VALU_DEP_1)
	v_lshlrev_b32_e32 v9, 2, v8
	ds_load_b32 v9, v9 offset:1024
	s_waitcnt lgkmcnt(0)
	v_cmp_lt_i32_e32 vcc_lo, v9, v4
	v_dual_cndmask_b32 v7, v8, v7 :: v_dual_add_nc_u32 v10, 1, v8
	v_cndmask_b32_e32 v3, v3, v10, vcc_lo
	s_or_b32 exec_lo, exec_lo, s0
	s_delay_alu instid0(SALU_CYCLE_1) | instskip(NEXT) | instid1(VALU_DEP_1)
	s_mov_b32 s0, exec_lo
	v_cmpx_lt_i32_e64 v3, v7
	s_cbranch_execz .LBB21_262
.LBB21_271:
	v_sub_nc_u32_e32 v8, v3, v7
	s_delay_alu instid0(VALU_DEP_1) | instskip(NEXT) | instid1(VALU_DEP_1)
	v_lshl_add_u32 v8, v7, 4, v8
	v_ashrrev_i32_e32 v8, 4, v8
	s_delay_alu instid0(VALU_DEP_1) | instskip(SKIP_4) | instid1(VALU_DEP_1)
	v_lshlrev_b32_e32 v9, 2, v8
	ds_load_b32 v9, v9 offset:1024
	s_waitcnt lgkmcnt(0)
	v_cmp_lt_i32_e32 vcc_lo, v9, v4
	v_dual_cndmask_b32 v7, v8, v7 :: v_dual_add_nc_u32 v10, 1, v8
	v_cndmask_b32_e32 v3, v3, v10, vcc_lo
	s_or_b32 exec_lo, exec_lo, s0
	s_delay_alu instid0(SALU_CYCLE_1) | instskip(NEXT) | instid1(VALU_DEP_1)
	s_mov_b32 s0, exec_lo
	v_cmpx_lt_i32_e64 v3, v7
	s_cbranch_execz .LBB21_275
.LBB21_272:
	s_mov_b32 s3, 0
.LBB21_273:                             ; =>This Inner Loop Header: Depth=1
	v_sub_nc_u32_e32 v8, v3, v7
	s_delay_alu instid0(VALU_DEP_1) | instskip(NEXT) | instid1(VALU_DEP_1)
	v_lshl_add_u32 v8, v7, 1, v8
	v_ashrrev_i32_e32 v8, 1, v8
	s_delay_alu instid0(VALU_DEP_1) | instskip(SKIP_4) | instid1(VALU_DEP_1)
	v_lshlrev_b32_e32 v9, 2, v8
	ds_load_b32 v9, v9 offset:1024
	s_waitcnt lgkmcnt(0)
	v_cmp_lt_i32_e32 vcc_lo, v9, v4
	v_dual_cndmask_b32 v7, v8, v7 :: v_dual_add_nc_u32 v10, 1, v8
	v_cndmask_b32_e32 v3, v3, v10, vcc_lo
	s_delay_alu instid0(VALU_DEP_1) | instskip(SKIP_1) | instid1(SALU_CYCLE_1)
	v_cmp_ge_i32_e32 vcc_lo, v3, v7
	s_or_b32 s3, vcc_lo, s3
	s_and_not1_b32 exec_lo, exec_lo, s3
	s_cbranch_execnz .LBB21_273
; %bb.274:
	s_or_b32 exec_lo, exec_lo, s3
.LBB21_275:
	s_delay_alu instid0(SALU_CYCLE_1)
	s_or_b32 exec_lo, exec_lo, s0
	v_dual_mov_b32 v7, 0 :: v_dual_add_nc_u32 v6, 0x400, v6
	v_mov_b32_e32 v8, v5
	s_mov_b32 s0, exec_lo
	v_cmpx_lt_i32_e32 0, v5
	s_cbranch_execnz .LBB21_280
; %bb.276:
	s_or_b32 exec_lo, exec_lo, s0
	s_delay_alu instid0(SALU_CYCLE_1)
	s_mov_b32 s0, exec_lo
	v_cmpx_lt_i32_e64 v7, v8
	s_cbranch_execnz .LBB21_281
.LBB21_277:
	s_or_b32 exec_lo, exec_lo, s0
	s_delay_alu instid0(SALU_CYCLE_1)
	s_mov_b32 s0, exec_lo
	v_cmpx_lt_i32_e64 v7, v8
	s_cbranch_execnz .LBB21_282
.LBB21_278:
	s_or_b32 exec_lo, exec_lo, s0
	s_delay_alu instid0(SALU_CYCLE_1)
	s_mov_b32 s0, exec_lo
	v_cmpx_lt_i32_e64 v7, v8
	s_cbranch_execnz .LBB21_283
.LBB21_279:
	s_or_b32 exec_lo, exec_lo, s0
	s_delay_alu instid0(SALU_CYCLE_1)
	s_mov_b32 s0, exec_lo
	v_cmpx_lt_i32_e64 v7, v8
	s_cbranch_execnz .LBB21_284
	s_branch .LBB21_287
.LBB21_280:
	v_mul_lo_u32 v7, 0x1ff, v5
	s_delay_alu instid0(VALU_DEP_1) | instskip(NEXT) | instid1(VALU_DEP_1)
	v_ashrrev_i32_e32 v8, 9, v7
	v_lshl_add_u32 v7, v8, 2, s2
	ds_load_b32 v7, v7 offset:1024
	s_waitcnt lgkmcnt(0)
	v_cmp_lt_i32_e32 vcc_lo, v7, v4
	v_dual_cndmask_b32 v8, v8, v5 :: v_dual_add_nc_u32 v9, 1, v8
	s_delay_alu instid0(VALU_DEP_1) | instskip(SKIP_1) | instid1(SALU_CYCLE_1)
	v_cndmask_b32_e32 v7, 0, v9, vcc_lo
	s_or_b32 exec_lo, exec_lo, s0
	s_mov_b32 s0, exec_lo
	s_delay_alu instid0(VALU_DEP_1)
	v_cmpx_lt_i32_e64 v7, v8
	s_cbranch_execz .LBB21_277
.LBB21_281:
	v_sub_nc_u32_e32 v9, v7, v8
	s_delay_alu instid0(VALU_DEP_1) | instskip(NEXT) | instid1(VALU_DEP_1)
	v_lshl_add_u32 v9, v8, 7, v9
	v_ashrrev_i32_e32 v9, 7, v9
	s_delay_alu instid0(VALU_DEP_1) | instskip(SKIP_4) | instid1(VALU_DEP_1)
	v_lshl_add_u32 v10, v9, 2, s2
	ds_load_b32 v10, v10 offset:1024
	s_waitcnt lgkmcnt(0)
	v_cmp_lt_i32_e32 vcc_lo, v10, v4
	v_dual_cndmask_b32 v8, v9, v8 :: v_dual_add_nc_u32 v11, 1, v9
	v_cndmask_b32_e32 v7, v7, v11, vcc_lo
	s_or_b32 exec_lo, exec_lo, s0
	s_delay_alu instid0(SALU_CYCLE_1) | instskip(NEXT) | instid1(VALU_DEP_1)
	s_mov_b32 s0, exec_lo
	v_cmpx_lt_i32_e64 v7, v8
	s_cbranch_execz .LBB21_278
.LBB21_282:
	v_sub_nc_u32_e32 v9, v7, v8
	s_delay_alu instid0(VALU_DEP_1) | instskip(NEXT) | instid1(VALU_DEP_1)
	v_lshl_add_u32 v9, v8, 5, v9
	v_ashrrev_i32_e32 v9, 5, v9
	s_delay_alu instid0(VALU_DEP_1) | instskip(SKIP_4) | instid1(VALU_DEP_1)
	v_lshl_add_u32 v10, v9, 2, s2
	ds_load_b32 v10, v10 offset:1024
	s_waitcnt lgkmcnt(0)
	v_cmp_lt_i32_e32 vcc_lo, v10, v4
	v_dual_cndmask_b32 v8, v9, v8 :: v_dual_add_nc_u32 v11, 1, v9
	v_cndmask_b32_e32 v7, v7, v11, vcc_lo
	s_or_b32 exec_lo, exec_lo, s0
	s_delay_alu instid0(SALU_CYCLE_1) | instskip(NEXT) | instid1(VALU_DEP_1)
	s_mov_b32 s0, exec_lo
	v_cmpx_lt_i32_e64 v7, v8
	s_cbranch_execz .LBB21_279
.LBB21_283:
	v_sub_nc_u32_e32 v9, v7, v8
	s_delay_alu instid0(VALU_DEP_1) | instskip(NEXT) | instid1(VALU_DEP_1)
	v_lshl_add_u32 v9, v8, 4, v9
	v_ashrrev_i32_e32 v9, 4, v9
	s_delay_alu instid0(VALU_DEP_1) | instskip(SKIP_4) | instid1(VALU_DEP_1)
	v_lshl_add_u32 v10, v9, 2, s2
	ds_load_b32 v10, v10 offset:1024
	s_waitcnt lgkmcnt(0)
	v_cmp_lt_i32_e32 vcc_lo, v10, v4
	v_dual_cndmask_b32 v8, v9, v8 :: v_dual_add_nc_u32 v11, 1, v9
	v_cndmask_b32_e32 v7, v7, v11, vcc_lo
	s_or_b32 exec_lo, exec_lo, s0
	s_delay_alu instid0(SALU_CYCLE_1) | instskip(NEXT) | instid1(VALU_DEP_1)
	s_mov_b32 s0, exec_lo
	v_cmpx_lt_i32_e64 v7, v8
	s_cbranch_execz .LBB21_287
.LBB21_284:
	s_add_i32 s4, s2, 0x400
	s_mov_b32 s3, 0
.LBB21_285:                             ; =>This Inner Loop Header: Depth=1
	v_sub_nc_u32_e32 v9, v7, v8
	s_delay_alu instid0(VALU_DEP_1) | instskip(NEXT) | instid1(VALU_DEP_1)
	v_lshl_add_u32 v9, v8, 1, v9
	v_ashrrev_i32_e32 v9, 1, v9
	s_delay_alu instid0(VALU_DEP_1) | instskip(SKIP_4) | instid1(VALU_DEP_1)
	v_lshl_add_u32 v10, v9, 2, s4
	ds_load_b32 v10, v10
	s_waitcnt lgkmcnt(0)
	v_cmp_lt_i32_e32 vcc_lo, v10, v4
	v_dual_cndmask_b32 v8, v9, v8 :: v_dual_add_nc_u32 v11, 1, v9
	v_cndmask_b32_e32 v7, v7, v11, vcc_lo
	s_delay_alu instid0(VALU_DEP_1) | instskip(SKIP_1) | instid1(SALU_CYCLE_1)
	v_cmp_ge_i32_e32 vcc_lo, v7, v8
	s_or_b32 s3, vcc_lo, s3
	s_and_not1_b32 exec_lo, exec_lo, s3
	s_cbranch_execnz .LBB21_285
; %bb.286:
	s_or_b32 exec_lo, exec_lo, s3
.LBB21_287:
	s_delay_alu instid0(SALU_CYCLE_1) | instskip(SKIP_4) | instid1(VALU_DEP_1)
	s_or_b32 exec_lo, exec_lo, s0
	v_sub_nc_u32_e32 v0, v0, v3
	v_sub_nc_u32_e32 v9, v5, v7
	s_mov_b32 s3, 0
	s_mov_b32 s0, exec_lo
	v_add_nc_u32_e32 v8, v9, v0
	s_delay_alu instid0(VALU_DEP_1) | instskip(NEXT) | instid1(VALU_DEP_1)
	v_ashrrev_i32_e32 v0, 1, v8
	v_max_i32_e32 v0, v0, v9
	s_delay_alu instid0(VALU_DEP_1) | instskip(NEXT) | instid1(VALU_DEP_1)
	v_add3_u32 v7, v7, v0, 1
	v_min_i32_e32 v7, v7, v17
	s_delay_alu instid0(VALU_DEP_1) | instskip(SKIP_1) | instid1(VALU_DEP_2)
	v_sub_nc_u32_e32 v7, v7, v5
	v_mov_b32_e32 v5, 0
	v_cmpx_lt_i32_e32 0, v7
	s_cbranch_execz .LBB21_291
; %bb.288:
	v_mov_b32_e32 v5, 0
.LBB21_289:                             ; =>This Inner Loop Header: Depth=1
	s_delay_alu instid0(VALU_DEP_1) | instskip(NEXT) | instid1(VALU_DEP_1)
	v_add_nc_u32_e32 v10, v5, v7
	v_ashrrev_i32_e32 v10, 1, v10
	s_delay_alu instid0(VALU_DEP_1)
	v_lshl_add_u32 v11, v10, 2, v6
	v_add_nc_u32_e32 v12, 1, v10
	ds_load_b32 v11, v11
	s_waitcnt lgkmcnt(0)
	v_cmp_gt_i32_e32 vcc_lo, v11, v4
	v_cndmask_b32_e32 v5, v12, v5, vcc_lo
	v_cndmask_b32_e32 v7, v7, v10, vcc_lo
	s_delay_alu instid0(VALU_DEP_1) | instskip(SKIP_1) | instid1(SALU_CYCLE_1)
	v_cmp_ge_i32_e32 vcc_lo, v5, v7
	s_or_b32 s3, vcc_lo, s3
	s_and_not1_b32 exec_lo, exec_lo, s3
	s_cbranch_execnz .LBB21_289
; %bb.290:
	s_or_b32 exec_lo, exec_lo, s3
.LBB21_291:
	s_delay_alu instid0(SALU_CYCLE_1) | instskip(SKIP_2) | instid1(VALU_DEP_1)
	s_or_b32 exec_lo, exec_lo, s0
	s_waitcnt lgkmcnt(0)
	v_add_nc_u32_e32 v4, v5, v9
	v_min_i32_e32 v5, v4, v0
	v_cmp_lt_i32_e32 vcc_lo, v0, v4
	s_delay_alu instid0(VALU_DEP_2) | instskip(SKIP_1) | instid1(VALU_DEP_2)
	v_sub_nc_u32_e32 v6, v8, v5
	v_add_nc_u32_e32 v5, 1, v5
	v_add_nc_u32_e32 v0, v6, v3
	s_delay_alu instid0(VALU_DEP_2) | instskip(NEXT) | instid1(VALU_DEP_1)
	v_cmp_eq_u32_e64 s0, v6, v5
	s_and_b32 s0, vcc_lo, s0
	s_delay_alu instid0(SALU_CYCLE_1)
	v_cndmask_b32_e64 v4, 0, 1, s0
.LBB21_292:
	s_or_b32 exec_lo, exec_lo, s1
	s_delay_alu instid0(VALU_DEP_1) | instskip(SKIP_3) | instid1(SALU_CYCLE_1)
	v_add_nc_u32_e32 v1, v4, v1
	v_add_nc_u32_e32 v4, -1, v16
	v_cmp_eq_u32_e64 s1, 0, v16
	s_lshl_b32 s0, s23, 16
	v_or_b32_e32 v5, s0, v17
	v_sub_nc_u32_e32 v3, v1, v0
	s_delay_alu instid0(VALU_DEP_3) | instskip(NEXT) | instid1(VALU_DEP_2)
	v_cndmask_b32_e64 v4, v4, 0xff, s1
	v_lshl_or_b32 v6, v0, 16, v3
	s_delay_alu instid0(VALU_DEP_2) | instskip(SKIP_1) | instid1(VALU_DEP_3)
	v_lshlrev_b32_e32 v4, 2, v4
	v_lshl_add_u32 v7, v3, 2, s2
	v_cndmask_b32_e64 v6, v6, v5, s1
	v_lshlrev_b32_e32 v5, 2, v0
	ds_store_b32 v4, v6
	s_waitcnt lgkmcnt(0)
	s_barrier
	buffer_gl0_inv
	ds_load_b32 v2, v2
	ds_load_b32 v18, v5 offset:1024
	ds_load_b32 v19, v7 offset:1024
	s_waitcnt lgkmcnt(2)
	v_ashrrev_i32_e32 v15, 16, v2
	s_waitcnt lgkmcnt(1)
	v_mov_b32_e32 v20, v18
	v_and_b32_e32 v4, 0xffff, v2
	s_waitcnt lgkmcnt(0)
	v_cmp_lt_i32_e32 vcc_lo, v19, v18
	v_cmp_le_i32_e64 s3, v15, v0
	v_cndmask_b32_e64 v2, 0, 1, vcc_lo
	v_cmp_le_i32_e32 vcc_lo, v4, v3
	s_delay_alu instid0(VALU_DEP_3)
	v_cndmask_b32_e64 v6, 0, 1, s3
	s_or_b32 s2, s3, vcc_lo
	s_delay_alu instid0(VALU_DEP_1) | instid1(SALU_CYCLE_1)
	v_cndmask_b32_e64 v2, v2, v6, s2
	s_delay_alu instid0(VALU_DEP_1) | instskip(NEXT) | instid1(VALU_DEP_1)
	v_and_b32_e32 v2, 1, v2
	v_cmp_eq_u32_e64 s0, 1, v2
	s_delay_alu instid0(VALU_DEP_1) | instskip(NEXT) | instid1(SALU_CYCLE_1)
	s_xor_b32 s5, s0, -1
	s_and_saveexec_b32 s4, s5
	s_cbranch_execz .LBB21_294
; %bb.293:
	ds_load_b32 v20, v5 offset:1028
	v_add_nc_u32_e32 v0, 1, v0
.LBB21_294:
	s_or_b32 exec_lo, exec_lo, s4
	s_xor_b32 s4, s3, -1
	v_cmp_lt_i32_e64 s3, v18, v19
	v_mov_b32_e32 v21, v19
	s_delay_alu instid0(VALU_DEP_2) | instskip(SKIP_1) | instid1(SALU_CYCLE_1)
	v_cndmask_b32_e64 v2, 0, 1, s3
	s_and_b32 s3, vcc_lo, s4
	v_cndmask_b32_e64 v5, 0, 1, s3
	s_delay_alu instid0(VALU_DEP_1) | instskip(NEXT) | instid1(VALU_DEP_1)
	v_cndmask_b32_e64 v2, v2, v5, s2
	v_and_b32_e32 v2, 1, v2
	s_delay_alu instid0(VALU_DEP_1) | instskip(SKIP_2) | instid1(SALU_CYCLE_1)
	v_cmp_eq_u32_e32 vcc_lo, 1, v2
	v_add_nc_u32_e32 v2, s23, v3
	s_xor_b32 s3, vcc_lo, -1
	s_and_saveexec_b32 s2, s3
	s_cbranch_execz .LBB21_296
; %bb.295:
	s_delay_alu instid0(VALU_DEP_1)
	v_lshlrev_b32_e32 v3, 2, v2
	v_add_nc_u32_e32 v2, 1, v2
	ds_load_b32 v21, v3 offset:1028
.LBB21_296:
	s_or_b32 exec_lo, exec_lo, s2
	s_waitcnt lgkmcnt(0)
	v_dual_mov_b32 v22, v20 :: v_dual_add_nc_u32 v17, s23, v4
	v_cmp_ge_i32_e32 vcc_lo, v0, v15
	v_cmp_lt_i32_e64 s2, v21, v20
	s_delay_alu instid0(VALU_DEP_3) | instskip(SKIP_1) | instid1(VALU_DEP_3)
	v_cmp_ge_i32_e64 s3, v2, v17
	v_cndmask_b32_e64 v3, 0, 1, vcc_lo
	v_cndmask_b32_e64 v4, 0, 1, s2
	s_delay_alu instid0(VALU_DEP_3)
	s_or_b32 s2, vcc_lo, s3
	s_delay_alu instid0(VALU_DEP_1) | instid1(SALU_CYCLE_1)
	v_cndmask_b32_e64 v3, v4, v3, s2
	s_delay_alu instid0(VALU_DEP_1) | instskip(NEXT) | instid1(VALU_DEP_1)
	v_and_b32_e32 v3, 1, v3
	v_cmp_eq_u32_e64 s2, 1, v3
	v_mov_b32_e32 v3, v0
	s_delay_alu instid0(VALU_DEP_2) | instskip(NEXT) | instid1(SALU_CYCLE_1)
	s_xor_b32 s5, s2, -1
	s_and_saveexec_b32 s4, s5
	s_cbranch_execz .LBB21_298
; %bb.297:
	v_lshlrev_b32_e32 v3, 2, v0
	ds_load_b32 v22, v3 offset:1028
	v_add_nc_u32_e32 v3, 1, v0
.LBB21_298:
	s_or_b32 exec_lo, exec_lo, s4
	v_cmp_lt_i32_e64 s4, v20, v21
	s_xor_b32 s5, vcc_lo, -1
	v_dual_mov_b32 v23, v21 :: v_dual_mov_b32 v4, v2
	s_delay_alu instid0(VALU_DEP_2) | instskip(NEXT) | instid1(SALU_CYCLE_1)
	s_or_b32 s3, s3, s4
	s_and_b32 s3, s5, s3
	s_delay_alu instid0(SALU_CYCLE_1) | instskip(NEXT) | instid1(SALU_CYCLE_1)
	s_xor_b32 s4, s3, -1
	s_and_saveexec_b32 s3, s4
	s_cbranch_execz .LBB21_300
; %bb.299:
	v_lshlrev_b32_e32 v4, 2, v2
	ds_load_b32 v23, v4 offset:1028
	v_add_nc_u32_e32 v4, 1, v2
.LBB21_300:
	s_or_b32 exec_lo, exec_lo, s3
	v_cmp_ge_i32_e64 s4, v3, v15
	s_waitcnt lgkmcnt(0)
	v_cmp_lt_i32_e64 s3, v23, v22
	v_cmp_ge_i32_e32 vcc_lo, v4, v17
	v_mov_b32_e32 v24, v22
	v_cndmask_b32_e64 v5, 0, 1, s4
	s_delay_alu instid0(VALU_DEP_4)
	v_cndmask_b32_e64 v6, 0, 1, s3
	s_or_b32 s3, s4, vcc_lo
	s_delay_alu instid0(VALU_DEP_1) | instid1(SALU_CYCLE_1)
	v_cndmask_b32_e64 v5, v6, v5, s3
	s_delay_alu instid0(VALU_DEP_1) | instskip(NEXT) | instid1(VALU_DEP_1)
	v_and_b32_e32 v5, 1, v5
	v_cmp_eq_u32_e64 s3, 1, v5
	v_mov_b32_e32 v5, v3
	s_delay_alu instid0(VALU_DEP_2) | instskip(NEXT) | instid1(SALU_CYCLE_1)
	s_xor_b32 s6, s3, -1
	s_and_saveexec_b32 s5, s6
	s_cbranch_execz .LBB21_302
; %bb.301:
	v_lshlrev_b32_e32 v5, 2, v3
	ds_load_b32 v24, v5 offset:1028
	v_add_nc_u32_e32 v5, 1, v3
.LBB21_302:
	s_or_b32 exec_lo, exec_lo, s5
	v_cmp_lt_i32_e64 s5, v22, v23
	s_xor_b32 s4, s4, -1
	v_dual_mov_b32 v25, v23 :: v_dual_mov_b32 v6, v4
	s_delay_alu instid0(VALU_DEP_2) | instskip(NEXT) | instid1(SALU_CYCLE_1)
	s_or_b32 s5, vcc_lo, s5
	s_and_b32 s4, s4, s5
	s_delay_alu instid0(SALU_CYCLE_1) | instskip(NEXT) | instid1(SALU_CYCLE_1)
	s_xor_b32 s5, s4, -1
	s_and_saveexec_b32 s4, s5
	s_cbranch_execz .LBB21_304
; %bb.303:
	v_lshlrev_b32_e32 v6, 2, v4
	ds_load_b32 v25, v6 offset:1028
	v_add_nc_u32_e32 v6, 1, v4
.LBB21_304:
	s_or_b32 exec_lo, exec_lo, s4
	v_cmp_ge_i32_e64 s5, v5, v15
	s_waitcnt lgkmcnt(0)
	v_cmp_lt_i32_e64 s4, v25, v24
	v_cmp_ge_i32_e32 vcc_lo, v6, v17
	v_mov_b32_e32 v26, v24
	v_cndmask_b32_e64 v7, 0, 1, s5
	s_delay_alu instid0(VALU_DEP_4)
	v_cndmask_b32_e64 v8, 0, 1, s4
	s_or_b32 s4, s5, vcc_lo
	s_delay_alu instid0(VALU_DEP_1) | instid1(SALU_CYCLE_1)
	v_cndmask_b32_e64 v7, v8, v7, s4
	s_delay_alu instid0(VALU_DEP_1) | instskip(NEXT) | instid1(VALU_DEP_1)
	v_and_b32_e32 v7, 1, v7
	v_cmp_eq_u32_e64 s4, 1, v7
	v_mov_b32_e32 v7, v5
	s_delay_alu instid0(VALU_DEP_2) | instskip(NEXT) | instid1(SALU_CYCLE_1)
	s_xor_b32 s7, s4, -1
	s_and_saveexec_b32 s6, s7
	s_cbranch_execz .LBB21_306
; %bb.305:
	v_lshlrev_b32_e32 v7, 2, v5
	ds_load_b32 v26, v7 offset:1028
	v_add_nc_u32_e32 v7, 1, v5
.LBB21_306:
	s_or_b32 exec_lo, exec_lo, s6
	v_cmp_lt_i32_e64 s6, v24, v25
	s_xor_b32 s5, s5, -1
	v_dual_mov_b32 v27, v25 :: v_dual_mov_b32 v8, v6
	s_delay_alu instid0(VALU_DEP_2) | instskip(NEXT) | instid1(SALU_CYCLE_1)
	s_or_b32 s6, vcc_lo, s6
	;; [unrolled: 41-line block ×3, first 2 shown]
	s_and_b32 s6, s6, s7
	s_delay_alu instid0(SALU_CYCLE_1) | instskip(NEXT) | instid1(SALU_CYCLE_1)
	s_xor_b32 s7, s6, -1
	s_and_saveexec_b32 s6, s7
	s_cbranch_execz .LBB21_312
; %bb.311:
	v_lshlrev_b32_e32 v10, 2, v8
	ds_load_b32 v29, v10 offset:1028
	v_add_nc_u32_e32 v10, 1, v8
.LBB21_312:
	s_or_b32 exec_lo, exec_lo, s6
	v_cmp_ge_i32_e64 s7, v9, v15
	s_waitcnt lgkmcnt(0)
	v_cmp_lt_i32_e64 s6, v29, v28
	v_cmp_ge_i32_e32 vcc_lo, v10, v17
	v_mov_b32_e32 v30, v28
	v_cndmask_b32_e64 v11, 0, 1, s7
	s_delay_alu instid0(VALU_DEP_4)
	v_cndmask_b32_e64 v12, 0, 1, s6
	s_or_b32 s6, s7, vcc_lo
	s_delay_alu instid0(VALU_DEP_1) | instid1(SALU_CYCLE_1)
	v_cndmask_b32_e64 v11, v12, v11, s6
	s_delay_alu instid0(VALU_DEP_1) | instskip(NEXT) | instid1(VALU_DEP_1)
	v_and_b32_e32 v11, 1, v11
	v_cmp_eq_u32_e64 s6, 1, v11
	v_mov_b32_e32 v11, v9
	s_delay_alu instid0(VALU_DEP_2) | instskip(NEXT) | instid1(SALU_CYCLE_1)
	s_xor_b32 s9, s6, -1
	s_and_saveexec_b32 s8, s9
	s_cbranch_execz .LBB21_314
; %bb.313:
	v_lshlrev_b32_e32 v11, 2, v9
	ds_load_b32 v30, v11 offset:1028
	v_add_nc_u32_e32 v11, 1, v9
.LBB21_314:
	s_or_b32 exec_lo, exec_lo, s8
	v_cmp_lt_i32_e64 s8, v28, v29
	s_xor_b32 s7, s7, -1
	v_mov_b32_e32 v31, v29
	v_mov_b32_e32 v13, v10
	s_delay_alu instid0(VALU_DEP_3) | instskip(NEXT) | instid1(SALU_CYCLE_1)
	s_or_b32 s8, vcc_lo, s8
	s_and_b32 s7, s7, s8
	s_delay_alu instid0(SALU_CYCLE_1) | instskip(NEXT) | instid1(SALU_CYCLE_1)
	s_xor_b32 s8, s7, -1
	s_and_saveexec_b32 s7, s8
	s_cbranch_execz .LBB21_316
; %bb.315:
	v_lshlrev_b32_e32 v12, 2, v10
	v_add_nc_u32_e32 v13, 1, v10
	ds_load_b32 v31, v12 offset:1028
.LBB21_316:
	s_or_b32 exec_lo, exec_lo, s7
	v_cmp_ge_i32_e64 s8, v11, v15
	s_waitcnt lgkmcnt(0)
	v_cmp_lt_i32_e64 s7, v31, v30
	v_cmp_ge_i32_e32 vcc_lo, v13, v17
	v_mov_b32_e32 v32, v30
	v_cndmask_b32_e64 v12, 0, 1, s8
	s_delay_alu instid0(VALU_DEP_4)
	v_cndmask_b32_e64 v14, 0, 1, s7
	s_or_b32 s7, s8, vcc_lo
	s_delay_alu instid0(VALU_DEP_1) | instid1(SALU_CYCLE_1)
	v_cndmask_b32_e64 v12, v14, v12, s7
	s_delay_alu instid0(VALU_DEP_1) | instskip(NEXT) | instid1(VALU_DEP_1)
	v_and_b32_e32 v12, 1, v12
	v_cmp_eq_u32_e64 s7, 1, v12
	v_mov_b32_e32 v12, v11
	s_delay_alu instid0(VALU_DEP_2) | instskip(NEXT) | instid1(SALU_CYCLE_1)
	s_xor_b32 s10, s7, -1
	s_and_saveexec_b32 s9, s10
	s_cbranch_execz .LBB21_318
; %bb.317:
	v_lshlrev_b32_e32 v12, 2, v11
	ds_load_b32 v32, v12 offset:1028
	v_add_nc_u32_e32 v12, 1, v11
.LBB21_318:
	s_or_b32 exec_lo, exec_lo, s9
	v_cmp_lt_i32_e64 s9, v30, v31
	s_xor_b32 s8, s8, -1
	v_dual_mov_b32 v33, v31 :: v_dual_mov_b32 v14, v13
	s_delay_alu instid0(VALU_DEP_2) | instskip(NEXT) | instid1(SALU_CYCLE_1)
	s_or_b32 s9, vcc_lo, s9
	s_and_b32 s8, s8, s9
	s_delay_alu instid0(SALU_CYCLE_1) | instskip(NEXT) | instid1(SALU_CYCLE_1)
	s_xor_b32 s9, s8, -1
	s_and_saveexec_b32 s8, s9
	s_cbranch_execz .LBB21_320
; %bb.319:
	v_lshlrev_b32_e32 v14, 2, v13
	ds_load_b32 v33, v14 offset:1028
	v_add_nc_u32_e32 v14, 1, v13
.LBB21_320:
	s_or_b32 exec_lo, exec_lo, s8
	v_cmp_ge_i32_e64 s9, v12, v15
	s_waitcnt lgkmcnt(0)
	v_cmp_lt_i32_e64 s8, v33, v32
	v_cmp_ge_i32_e32 vcc_lo, v14, v17
	v_mov_b32_e32 v52, v12
	v_cndmask_b32_e64 v34, 0, 1, s9
	s_delay_alu instid0(VALU_DEP_4)
	v_cndmask_b32_e64 v35, 0, 1, s8
	s_or_b32 s8, s9, vcc_lo
	s_delay_alu instid0(VALU_DEP_1) | instid1(SALU_CYCLE_1)
	v_cndmask_b32_e64 v34, v35, v34, s8
	s_delay_alu instid0(VALU_DEP_1) | instskip(NEXT) | instid1(VALU_DEP_1)
	v_and_b32_e32 v34, 1, v34
	v_cmp_eq_u32_e64 s8, 1, v34
	v_mov_b32_e32 v34, v32
	s_delay_alu instid0(VALU_DEP_2) | instskip(NEXT) | instid1(SALU_CYCLE_1)
	s_xor_b32 s11, s8, -1
	s_and_saveexec_b32 s10, s11
	s_cbranch_execz .LBB21_322
; %bb.321:
	v_lshlrev_b32_e32 v34, 2, v12
	v_add_nc_u32_e32 v52, 1, v12
	ds_load_b32 v34, v34 offset:1028
.LBB21_322:
	s_or_b32 exec_lo, exec_lo, s10
	v_cmp_lt_i32_e64 s10, v32, v33
	s_xor_b32 s9, s9, -1
	v_mov_b32_e32 v35, v33
	v_mov_b32_e32 v53, v14
	s_delay_alu instid0(VALU_DEP_3) | instskip(NEXT) | instid1(SALU_CYCLE_1)
	s_or_b32 s10, vcc_lo, s10
	s_and_b32 s9, s9, s10
	s_delay_alu instid0(SALU_CYCLE_1) | instskip(NEXT) | instid1(SALU_CYCLE_1)
	s_xor_b32 s10, s9, -1
	s_and_saveexec_b32 s9, s10
	s_cbranch_execz .LBB21_324
; %bb.323:
	v_lshlrev_b32_e32 v35, 2, v14
	v_add_nc_u32_e32 v53, 1, v14
	ds_load_b32 v35, v35 offset:1028
.LBB21_324:
	s_or_b32 exec_lo, exec_lo, s9
	v_cmp_ge_i32_e64 s10, v52, v15
	s_waitcnt lgkmcnt(0)
	v_cmp_lt_i32_e64 s9, v35, v34
	v_cmp_ge_i32_e32 vcc_lo, v53, v17
	v_mov_b32_e32 v54, v52
	v_cndmask_b32_e64 v36, 0, 1, s10
	s_delay_alu instid0(VALU_DEP_4)
	v_cndmask_b32_e64 v37, 0, 1, s9
	s_or_b32 s9, s10, vcc_lo
	s_delay_alu instid0(VALU_DEP_1) | instid1(SALU_CYCLE_1)
	v_cndmask_b32_e64 v36, v37, v36, s9
	s_delay_alu instid0(VALU_DEP_1) | instskip(NEXT) | instid1(VALU_DEP_1)
	v_and_b32_e32 v36, 1, v36
	v_cmp_eq_u32_e64 s9, 1, v36
	v_mov_b32_e32 v36, v34
	s_delay_alu instid0(VALU_DEP_2) | instskip(NEXT) | instid1(SALU_CYCLE_1)
	s_xor_b32 s12, s9, -1
	s_and_saveexec_b32 s11, s12
	s_cbranch_execz .LBB21_326
; %bb.325:
	v_lshlrev_b32_e32 v36, 2, v52
	v_add_nc_u32_e32 v54, 1, v52
	ds_load_b32 v36, v36 offset:1028
.LBB21_326:
	s_or_b32 exec_lo, exec_lo, s11
	v_cmp_lt_i32_e64 s11, v34, v35
	s_xor_b32 s10, s10, -1
	v_mov_b32_e32 v37, v35
	v_mov_b32_e32 v55, v53
	s_delay_alu instid0(VALU_DEP_3) | instskip(NEXT) | instid1(SALU_CYCLE_1)
	s_or_b32 s11, vcc_lo, s11
	s_and_b32 s10, s10, s11
	s_delay_alu instid0(SALU_CYCLE_1) | instskip(NEXT) | instid1(SALU_CYCLE_1)
	s_xor_b32 s11, s10, -1
	s_and_saveexec_b32 s10, s11
	s_cbranch_execz .LBB21_328
; %bb.327:
	v_lshlrev_b32_e32 v37, 2, v53
	v_add_nc_u32_e32 v55, 1, v53
	ds_load_b32 v37, v37 offset:1028
.LBB21_328:
	;; [unrolled: 42-line block ×7, first 2 shown]
	s_or_b32 exec_lo, exec_lo, s15
	v_cmp_ge_i32_e64 s16, v64, v15
	s_waitcnt lgkmcnt(0)
	v_cmp_lt_i32_e64 s15, v47, v46
	v_cmp_ge_i32_e32 vcc_lo, v65, v17
	s_delay_alu instid0(VALU_DEP_3) | instskip(NEXT) | instid1(VALU_DEP_3)
	v_cndmask_b32_e64 v48, 0, 1, s16
	v_cndmask_b32_e64 v49, 0, 1, s15
	s_or_b32 s15, s16, vcc_lo
	s_delay_alu instid0(VALU_DEP_1) | instid1(SALU_CYCLE_1)
	v_cndmask_b32_e64 v48, v49, v48, s15
	s_delay_alu instid0(VALU_DEP_1) | instskip(NEXT) | instid1(VALU_DEP_1)
	v_dual_mov_b32 v49, v64 :: v_dual_and_b32 v48, 1, v48
	v_cmp_eq_u32_e64 s15, 1, v48
	v_mov_b32_e32 v48, v46
	s_delay_alu instid0(VALU_DEP_2) | instskip(NEXT) | instid1(SALU_CYCLE_1)
	s_xor_b32 s18, s15, -1
	s_and_saveexec_b32 s17, s18
	s_cbranch_execz .LBB21_350
; %bb.349:
	v_lshlrev_b32_e32 v48, 2, v64
	v_add_nc_u32_e32 v49, 1, v64
	ds_load_b32 v48, v48 offset:1028
.LBB21_350:
	s_or_b32 exec_lo, exec_lo, s17
	v_cmp_lt_i32_e64 s17, v46, v47
	s_xor_b32 s16, s16, -1
	v_dual_mov_b32 v50, v47 :: v_dual_mov_b32 v51, v65
	s_delay_alu instid0(VALU_DEP_2) | instskip(NEXT) | instid1(SALU_CYCLE_1)
	s_or_b32 s17, vcc_lo, s17
	s_and_b32 s16, s16, s17
	s_delay_alu instid0(SALU_CYCLE_1) | instskip(NEXT) | instid1(SALU_CYCLE_1)
	s_xor_b32 s17, s16, -1
	s_and_saveexec_b32 s16, s17
	s_cbranch_execz .LBB21_352
; %bb.351:
	v_lshlrev_b32_e32 v50, 2, v65
	v_add_nc_u32_e32 v51, 1, v65
	ds_load_b32 v50, v50 offset:1028
.LBB21_352:
	s_or_b32 exec_lo, exec_lo, s16
	v_add_nc_u32_e32 v66, v51, v49
	v_add_nc_u32_e32 v67, v17, v15
	v_add_nc_u32_e32 v9, v10, v9
	v_add_nc_u32_e32 v62, v63, v62
	v_add_nc_u32_e32 v3, v4, v3
	v_add_nc_u32_e32 v0, v2, v0
	v_add_nc_u32_e32 v63, v65, v64
	v_cmp_lt_i32_e64 s16, v9, v67
	v_mov_b32_e32 v9, 0
	v_cmp_lt_i32_e32 vcc_lo, v66, v67
	v_add_nc_u32_e32 v58, v59, v58
	v_add_nc_u32_e32 v7, v8, v7
	;; [unrolled: 1-line block ×3, first 2 shown]
	v_cmp_lt_i32_e64 s19, v3, v67
	v_cndmask_b32_e64 v64, 0, 1, vcc_lo
	v_cmp_lt_i32_e32 vcc_lo, v62, v67
	v_cmp_lt_i32_e64 s20, v0, v67
	v_add_nc_u32_e32 v1, s23, v1
	v_add_nc_u32_e32 v11, v13, v11
	v_cmp_lt_i32_e64 s17, v7, v67
	v_cndmask_b32_e64 v59, 0, 1, vcc_lo
	v_cmp_lt_i32_e32 vcc_lo, v58, v67
	v_cndmask_b32_e64 v3, 0, 1, s19
	v_cndmask_b32_e64 v0, 0, 1, s20
	v_cmp_lt_i32_e64 s18, v4, v67
	v_cmp_lt_i32_e64 s21, v1, v67
	v_cndmask_b32_e64 v13, 0, 1, vcc_lo
	v_add_nc_u32_e32 v54, v55, v54
	v_cmp_lt_i32_e32 vcc_lo, v11, v67
	v_cndmask_b32_e64 v2, 0, 1, s17
	v_cndmask_b32_e64 v4, 0, 1, s18
	v_lshlrev_b32_e32 v3, 2, v3
	v_lshlrev_b32_e32 v0, 1, v0
	v_cndmask_b32_e64 v1, 0, 1, s21
	v_cndmask_b32_e64 v8, 0, 1, vcc_lo
	v_lshlrev_b32_e32 v2, 4, v2
	v_lshlrev_b32_e32 v4, 3, v4
	v_cmp_lt_i32_e32 vcc_lo, v54, v67
	v_or3_b32 v0, v0, v1, v3
	v_add_nc_u32_e32 v1, v53, v52
	v_cndmask_b32_e64 v5, 0, 1, s16
	v_add_nc_u32_e32 v3, v14, v12
	v_add_nc_u32_e32 v56, v57, v56
	v_or3_b32 v0, v0, v4, v2
	v_cndmask_b32_e64 v2, 0, 1, vcc_lo
	v_cmp_lt_i32_e32 vcc_lo, v1, v67
	v_lshlrev_b32_e32 v6, 6, v8
	v_lshlrev_b32_e32 v5, 5, v5
	v_add_nc_u32_e32 v60, v61, v60
	v_lshlrev_b32_e32 v2, 9, v2
	v_cndmask_b32_e64 v1, 0, 1, vcc_lo
	v_cmp_lt_i32_e32 vcc_lo, v3, v67
	v_or3_b32 v57, v0, v5, v6
	v_lshlrev_b32_e32 v4, 11, v13
	v_mbcnt_lo_u32_b32 v58, -1, 0
	v_lshlrev_b32_e32 v1, 8, v1
	v_cndmask_b32_e64 v0, 0, 1, vcc_lo
	v_cmp_lt_i32_e32 vcc_lo, v56, v67
	s_cmp_lg_u32 s30, 0
	s_waitcnt lgkmcnt(0)
	s_barrier
	v_lshl_or_b32 v56, v0, 7, v57
	v_cndmask_b32_e64 v3, 0, 1, vcc_lo
	v_cmp_lt_i32_e32 vcc_lo, v60, v67
	buffer_gl0_inv
	v_or3_b32 v55, v1, v2, v56
	v_lshlrev_b32_e32 v3, 10, v3
	v_cndmask_b32_e64 v0, 0, 1, vcc_lo
	v_cmp_lt_i32_e32 vcc_lo, v63, v67
	v_lshlrev_b32_e32 v2, 13, v59
	s_delay_alu instid0(VALU_DEP_4) | instskip(NEXT) | instid1(VALU_DEP_4)
	v_or3_b32 v54, v3, v4, v55
	v_lshlrev_b32_e32 v0, 12, v0
	v_cndmask_b32_e64 v1, 0, 1, vcc_lo
	v_lshlrev_b32_e32 v3, 15, v64
	s_delay_alu instid0(VALU_DEP_3) | instskip(NEXT) | instid1(VALU_DEP_3)
	v_or3_b32 v53, v0, v2, v54
	v_lshlrev_b32_e32 v1, 14, v1
	s_delay_alu instid0(VALU_DEP_1) | instskip(NEXT) | instid1(VALU_DEP_1)
	v_or3_b32 v52, v1, v3, v53
	v_bcnt_u32_b32 v8, v52, 0
	s_cbranch_scc0 .LBB21_414
; %bb.353:
	s_delay_alu instid0(VALU_DEP_1)
	v_dual_mov_b32 v3, v8 :: v_dual_and_b32 v4, 15, v58
	v_mov_b32_dpp v6, v8 row_shr:1 row_mask:0xf bank_mask:0xf
	v_mov_b32_dpp v5, v9 row_shr:1 row_mask:0xf bank_mask:0xf
	v_mov_b32_e32 v2, v9
	v_dual_mov_b32 v0, v8 :: v_dual_mov_b32 v1, v9
	s_mov_b32 s22, exec_lo
	v_cmpx_ne_u32_e32 0, v4
; %bb.354:
	v_add_co_u32 v3, s23, v6, v8
	s_delay_alu instid0(VALU_DEP_1) | instskip(NEXT) | instid1(VALU_DEP_2)
	v_add_co_ci_u32_e64 v0, null, 0, 0, s23
	v_add_co_u32 v1, vcc_lo, 0, v3
	s_delay_alu instid0(VALU_DEP_2) | instskip(NEXT) | instid1(VALU_DEP_2)
	v_add_co_ci_u32_e32 v2, vcc_lo, v5, v0, vcc_lo
	v_mov_b32_e32 v0, v1
	s_delay_alu instid0(VALU_DEP_2)
	v_mov_b32_e32 v1, v2
; %bb.355:
	s_or_b32 exec_lo, exec_lo, s22
	v_mov_b32_dpp v6, v3 row_shr:2 row_mask:0xf bank_mask:0xf
	v_mov_b32_dpp v5, v2 row_shr:2 row_mask:0xf bank_mask:0xf
	s_mov_b32 s22, exec_lo
	v_cmpx_lt_u32_e32 1, v4
; %bb.356:
	s_delay_alu instid0(VALU_DEP_3) | instskip(SKIP_1) | instid1(VALU_DEP_2)
	v_add_co_u32 v3, vcc_lo, v0, v6
	v_add_co_ci_u32_e32 v0, vcc_lo, 0, v1, vcc_lo
	v_add_co_u32 v1, vcc_lo, 0, v3
	s_delay_alu instid0(VALU_DEP_2) | instskip(NEXT) | instid1(VALU_DEP_2)
	v_add_co_ci_u32_e32 v2, vcc_lo, v5, v0, vcc_lo
	v_mov_b32_e32 v0, v1
	s_delay_alu instid0(VALU_DEP_2)
	v_mov_b32_e32 v1, v2
; %bb.357:
	s_or_b32 exec_lo, exec_lo, s22
	v_mov_b32_dpp v6, v3 row_shr:4 row_mask:0xf bank_mask:0xf
	v_mov_b32_dpp v5, v2 row_shr:4 row_mask:0xf bank_mask:0xf
	s_mov_b32 s22, exec_lo
	v_cmpx_lt_u32_e32 3, v4
; %bb.358:
	s_delay_alu instid0(VALU_DEP_3) | instskip(SKIP_1) | instid1(VALU_DEP_2)
	v_add_co_u32 v3, vcc_lo, v0, v6
	v_add_co_ci_u32_e32 v0, vcc_lo, 0, v1, vcc_lo
	;; [unrolled: 16-line block ×3, first 2 shown]
	v_add_co_u32 v0, vcc_lo, 0, v3
	s_delay_alu instid0(VALU_DEP_2) | instskip(NEXT) | instid1(VALU_DEP_1)
	v_add_co_ci_u32_e32 v1, vcc_lo, v5, v1, vcc_lo
	v_mov_b32_e32 v2, v1
; %bb.361:
	s_or_b32 exec_lo, exec_lo, s22
	ds_swizzle_b32 v4, v3 offset:swizzle(BROADCAST,32,15)
	ds_swizzle_b32 v2, v2 offset:swizzle(BROADCAST,32,15)
	v_and_b32_e32 v5, 16, v58
	s_mov_b32 s22, exec_lo
	s_delay_alu instid0(VALU_DEP_1)
	v_cmpx_ne_u32_e32 0, v5
	s_cbranch_execz .LBB21_363
; %bb.362:
	s_waitcnt lgkmcnt(1)
	v_add_co_u32 v3, vcc_lo, v0, v4
	v_add_co_ci_u32_e32 v1, vcc_lo, 0, v1, vcc_lo
	s_delay_alu instid0(VALU_DEP_2) | instskip(SKIP_1) | instid1(VALU_DEP_2)
	v_add_co_u32 v0, vcc_lo, 0, v3
	s_waitcnt lgkmcnt(0)
	v_add_co_ci_u32_e32 v1, vcc_lo, v2, v1, vcc_lo
.LBB21_363:
	s_or_b32 exec_lo, exec_lo, s22
	s_waitcnt lgkmcnt(0)
	v_and_b32_e32 v2, 0x3e0, v16
	s_mov_b32 s22, exec_lo
	s_delay_alu instid0(VALU_DEP_1) | instskip(NEXT) | instid1(VALU_DEP_1)
	v_min_u32_e32 v2, 0xe0, v2
	v_or_b32_e32 v4, 31, v2
	v_lshrrev_b32_e32 v2, 5, v16
	s_delay_alu instid0(VALU_DEP_2)
	v_cmpx_eq_u32_e64 v4, v16
	s_cbranch_execz .LBB21_365
; %bb.364:
	s_delay_alu instid0(VALU_DEP_2)
	v_lshlrev_b32_e32 v4, 3, v2
	ds_store_b64 v4, v[0:1]
.LBB21_365:
	s_or_b32 exec_lo, exec_lo, s22
	s_delay_alu instid0(SALU_CYCLE_1)
	s_mov_b32 s22, exec_lo
	s_waitcnt lgkmcnt(0)
	s_barrier
	buffer_gl0_inv
	v_cmpx_gt_u32_e32 8, v16
	s_cbranch_execz .LBB21_373
; %bb.366:
	v_lshlrev_b32_e32 v4, 3, v16
	s_mov_b32 s23, exec_lo
	ds_load_b64 v[0:1], v4
	s_waitcnt lgkmcnt(0)
	v_dual_mov_b32 v6, v0 :: v_dual_and_b32 v5, 7, v58
	v_mov_b32_dpp v10, v0 row_shr:1 row_mask:0xf bank_mask:0xf
	v_mov_b32_dpp v7, v1 row_shr:1 row_mask:0xf bank_mask:0xf
	s_delay_alu instid0(VALU_DEP_3)
	v_cmpx_ne_u32_e32 0, v5
; %bb.367:
	s_delay_alu instid0(VALU_DEP_3) | instskip(SKIP_1) | instid1(VALU_DEP_2)
	v_add_co_u32 v6, vcc_lo, v0, v10
	v_add_co_ci_u32_e32 v1, vcc_lo, 0, v1, vcc_lo
	v_add_co_u32 v0, vcc_lo, 0, v6
	s_delay_alu instid0(VALU_DEP_2)
	v_add_co_ci_u32_e32 v1, vcc_lo, v7, v1, vcc_lo
; %bb.368:
	s_or_b32 exec_lo, exec_lo, s23
	v_mov_b32_dpp v10, v6 row_shr:2 row_mask:0xf bank_mask:0xf
	s_delay_alu instid0(VALU_DEP_2)
	v_mov_b32_dpp v7, v1 row_shr:2 row_mask:0xf bank_mask:0xf
	s_mov_b32 s23, exec_lo
	v_cmpx_lt_u32_e32 1, v5
; %bb.369:
	s_delay_alu instid0(VALU_DEP_3) | instskip(SKIP_1) | instid1(VALU_DEP_2)
	v_add_co_u32 v6, vcc_lo, v0, v10
	v_add_co_ci_u32_e32 v1, vcc_lo, 0, v1, vcc_lo
	v_add_co_u32 v0, vcc_lo, 0, v6
	s_delay_alu instid0(VALU_DEP_2)
	v_add_co_ci_u32_e32 v1, vcc_lo, v7, v1, vcc_lo
; %bb.370:
	s_or_b32 exec_lo, exec_lo, s23
	v_mov_b32_dpp v7, v6 row_shr:4 row_mask:0xf bank_mask:0xf
	s_delay_alu instid0(VALU_DEP_2)
	v_mov_b32_dpp v6, v1 row_shr:4 row_mask:0xf bank_mask:0xf
	s_mov_b32 s23, exec_lo
	v_cmpx_lt_u32_e32 3, v5
; %bb.371:
	s_delay_alu instid0(VALU_DEP_3) | instskip(SKIP_1) | instid1(VALU_DEP_2)
	v_add_co_u32 v0, vcc_lo, v0, v7
	v_add_co_ci_u32_e32 v1, vcc_lo, 0, v1, vcc_lo
	v_add_co_u32 v0, vcc_lo, v0, 0
	s_delay_alu instid0(VALU_DEP_2)
	v_add_co_ci_u32_e32 v1, vcc_lo, v1, v6, vcc_lo
; %bb.372:
	s_or_b32 exec_lo, exec_lo, s23
	ds_store_b64 v4, v[0:1]
.LBB21_373:
	s_or_b32 exec_lo, exec_lo, s22
	v_cmp_gt_u32_e32 vcc_lo, 32, v16
	s_mov_b32 s23, exec_lo
	s_waitcnt lgkmcnt(0)
	s_barrier
	buffer_gl0_inv
                                        ; implicit-def: $vgpr10_vgpr11
	v_cmpx_lt_u32_e32 31, v16
	s_cbranch_execz .LBB21_375
; %bb.374:
	v_lshl_add_u32 v0, v2, 3, -8
	ds_load_b64 v[10:11], v0
	s_waitcnt lgkmcnt(0)
	v_add_nc_u32_e32 v3, v3, v10
.LBB21_375:
	s_or_b32 exec_lo, exec_lo, s23
	v_add_nc_u32_e32 v0, -1, v58
	s_delay_alu instid0(VALU_DEP_1) | instskip(NEXT) | instid1(VALU_DEP_1)
	v_cmp_gt_i32_e64 s22, 0, v0
	v_cndmask_b32_e64 v0, v0, v58, s22
	v_cmp_eq_u32_e64 s22, 0, v58
	s_delay_alu instid0(VALU_DEP_2)
	v_lshlrev_b32_e32 v0, 2, v0
	ds_bpermute_b32 v59, v0, v3
	s_and_saveexec_b32 s23, vcc_lo
	s_cbranch_execz .LBB21_413
; %bb.376:
	v_mov_b32_e32 v3, 0
	ds_load_b64 v[0:1], v3 offset:56
	s_and_saveexec_b32 s26, s22
	s_cbranch_execz .LBB21_378
; %bb.377:
	s_add_i32 s34, s30, 32
	s_mov_b32 s35, 0
	s_delay_alu instid0(SALU_CYCLE_1) | instskip(NEXT) | instid1(SALU_CYCLE_1)
	s_lshl_b64 s[34:35], s[34:35], 4
	s_add_u32 s34, s28, s34
	s_addc_u32 s35, s29, s35
	v_mov_b32_e32 v4, s34
	v_dual_mov_b32 v2, 1 :: v_dual_mov_b32 v5, s35
	s_waitcnt lgkmcnt(0)
	;;#ASMSTART
	global_store_dwordx4 v[4:5], v[0:3] off	
s_waitcnt vmcnt(0)
	;;#ASMEND
.LBB21_378:
	s_or_b32 exec_lo, exec_lo, s26
	v_xad_u32 v11, v58, -1, s30
	s_mov_b32 s27, 0
	s_mov_b32 s26, exec_lo
	s_delay_alu instid0(VALU_DEP_1) | instskip(NEXT) | instid1(VALU_DEP_1)
	v_add_nc_u32_e32 v2, 32, v11
	v_lshlrev_b64 v[2:3], 4, v[2:3]
	s_delay_alu instid0(VALU_DEP_1) | instskip(NEXT) | instid1(VALU_DEP_2)
	v_add_co_u32 v2, vcc_lo, s28, v2
	v_add_co_ci_u32_e32 v3, vcc_lo, s29, v3, vcc_lo
	;;#ASMSTART
	global_load_dwordx4 v[4:7], v[2:3] off glc	
s_waitcnt vmcnt(0)
	;;#ASMEND
	v_and_b32_e32 v7, 0xff, v5
	v_and_b32_e32 v12, 0xff00, v5
	;; [unrolled: 1-line block ×3, first 2 shown]
	v_or3_b32 v4, v4, 0, 0
	v_and_b32_e32 v5, 0xff000000, v5
	s_delay_alu instid0(VALU_DEP_4) | instskip(SKIP_1) | instid1(VALU_DEP_4)
	v_or3_b32 v7, 0, v7, v12
	v_and_b32_e32 v12, 0xff, v6
	v_or3_b32 v4, v4, 0, 0
	s_delay_alu instid0(VALU_DEP_3) | instskip(NEXT) | instid1(VALU_DEP_3)
	v_or3_b32 v5, v7, v13, v5
	v_cmpx_eq_u16_e32 0, v12
	s_cbranch_execz .LBB21_381
.LBB21_379:                             ; =>This Inner Loop Header: Depth=1
	;;#ASMSTART
	global_load_dwordx4 v[4:7], v[2:3] off glc	
s_waitcnt vmcnt(0)
	;;#ASMEND
	v_and_b32_e32 v7, 0xff, v6
	s_delay_alu instid0(VALU_DEP_1) | instskip(SKIP_1) | instid1(SALU_CYCLE_1)
	v_cmp_ne_u16_e32 vcc_lo, 0, v7
	s_or_b32 s27, vcc_lo, s27
	s_and_not1_b32 exec_lo, exec_lo, s27
	s_cbranch_execnz .LBB21_379
; %bb.380:
	s_or_b32 exec_lo, exec_lo, s27
.LBB21_381:
	s_delay_alu instid0(SALU_CYCLE_1)
	s_or_b32 exec_lo, exec_lo, s26
	v_cmp_ne_u32_e32 vcc_lo, 31, v58
	v_and_b32_e32 v3, 0xff, v6
	v_lshlrev_b32_e64 v61, v58, -1
	s_mov_b32 s26, exec_lo
	v_add_co_ci_u32_e32 v2, vcc_lo, 0, v58, vcc_lo
	s_delay_alu instid0(VALU_DEP_3) | instskip(NEXT) | instid1(VALU_DEP_2)
	v_cmp_eq_u16_e32 vcc_lo, 2, v3
	v_dual_mov_b32 v3, v4 :: v_dual_lshlrev_b32 v60, 2, v2
	v_and_or_b32 v2, vcc_lo, v61, 0x80000000
	ds_bpermute_b32 v12, v60, v4
	ds_bpermute_b32 v7, v60, v5
	v_ctz_i32_b32_e32 v2, v2
	s_delay_alu instid0(VALU_DEP_1)
	v_cmpx_lt_u32_e64 v58, v2
	s_cbranch_execz .LBB21_383
; %bb.382:
	s_waitcnt lgkmcnt(1)
	v_add_co_u32 v3, vcc_lo, v4, v12
	v_add_co_ci_u32_e32 v5, vcc_lo, 0, v5, vcc_lo
	s_delay_alu instid0(VALU_DEP_2) | instskip(SKIP_1) | instid1(VALU_DEP_2)
	v_add_co_u32 v4, vcc_lo, 0, v3
	s_waitcnt lgkmcnt(0)
	v_add_co_ci_u32_e32 v5, vcc_lo, v7, v5, vcc_lo
.LBB21_383:
	s_or_b32 exec_lo, exec_lo, s26
	v_cmp_gt_u32_e32 vcc_lo, 30, v58
	v_add_nc_u32_e32 v63, 2, v58
	s_mov_b32 s26, exec_lo
	s_waitcnt lgkmcnt(0)
	v_cndmask_b32_e64 v7, 0, 1, vcc_lo
	s_delay_alu instid0(VALU_DEP_1) | instskip(NEXT) | instid1(VALU_DEP_1)
	v_lshlrev_b32_e32 v7, 1, v7
	v_add_lshl_u32 v62, v7, v58, 2
	ds_bpermute_b32 v12, v62, v3
	ds_bpermute_b32 v7, v62, v5
	v_cmpx_le_u32_e64 v63, v2
	s_cbranch_execz .LBB21_385
; %bb.384:
	s_waitcnt lgkmcnt(1)
	v_add_co_u32 v3, vcc_lo, v4, v12
	v_add_co_ci_u32_e32 v5, vcc_lo, 0, v5, vcc_lo
	s_delay_alu instid0(VALU_DEP_2) | instskip(SKIP_1) | instid1(VALU_DEP_2)
	v_add_co_u32 v4, vcc_lo, 0, v3
	s_waitcnt lgkmcnt(0)
	v_add_co_ci_u32_e32 v5, vcc_lo, v7, v5, vcc_lo
.LBB21_385:
	s_or_b32 exec_lo, exec_lo, s26
	v_cmp_gt_u32_e32 vcc_lo, 28, v58
	v_add_nc_u32_e32 v65, 4, v58
	s_mov_b32 s26, exec_lo
	s_waitcnt lgkmcnt(0)
	v_cndmask_b32_e64 v7, 0, 1, vcc_lo
	s_delay_alu instid0(VALU_DEP_1) | instskip(NEXT) | instid1(VALU_DEP_1)
	v_lshlrev_b32_e32 v7, 2, v7
	v_add_lshl_u32 v64, v7, v58, 2
	ds_bpermute_b32 v12, v64, v3
	ds_bpermute_b32 v7, v64, v5
	v_cmpx_le_u32_e64 v65, v2
	;; [unrolled: 22-line block ×4, first 2 shown]
	s_cbranch_execz .LBB21_391
; %bb.390:
	s_waitcnt lgkmcnt(1)
	v_add_co_u32 v2, vcc_lo, v4, v7
	v_add_co_ci_u32_e32 v5, vcc_lo, 0, v5, vcc_lo
	s_delay_alu instid0(VALU_DEP_2) | instskip(SKIP_1) | instid1(VALU_DEP_2)
	v_add_co_u32 v4, vcc_lo, v2, 0
	s_waitcnt lgkmcnt(0)
	v_add_co_ci_u32_e32 v5, vcc_lo, v5, v3, vcc_lo
.LBB21_391:
	s_or_b32 exec_lo, exec_lo, s26
	v_mov_b32_e32 v12, 0
	s_branch .LBB21_393
.LBB21_392:                             ;   in Loop: Header=BB21_393 Depth=1
	s_or_b32 exec_lo, exec_lo, s26
	v_add_co_u32 v4, vcc_lo, v4, v2
	v_subrev_nc_u32_e32 v11, 32, v11
	v_add_co_ci_u32_e32 v5, vcc_lo, v5, v3, vcc_lo
.LBB21_393:                             ; =>This Loop Header: Depth=1
                                        ;     Child Loop BB21_396 Depth 2
	v_and_b32_e32 v2, 0xff, v6
	s_delay_alu instid0(VALU_DEP_1) | instskip(SKIP_2) | instid1(VALU_DEP_1)
	v_cmp_ne_u16_e32 vcc_lo, 2, v2
	v_cndmask_b32_e64 v2, 0, 1, vcc_lo
	;;#ASMSTART
	;;#ASMEND
	v_cmp_ne_u32_e32 vcc_lo, 0, v2
	s_waitcnt lgkmcnt(0)
	v_dual_mov_b32 v2, v4 :: v_dual_mov_b32 v3, v5
	s_cmp_lg_u32 vcc_lo, exec_lo
	s_cbranch_scc1 .LBB21_408
; %bb.394:                              ;   in Loop: Header=BB21_393 Depth=1
	v_lshlrev_b64 v[4:5], 4, v[11:12]
	s_mov_b32 s26, exec_lo
	s_delay_alu instid0(VALU_DEP_1) | instskip(NEXT) | instid1(VALU_DEP_2)
	v_add_co_u32 v13, vcc_lo, s28, v4
	v_add_co_ci_u32_e32 v14, vcc_lo, s29, v5, vcc_lo
	;;#ASMSTART
	global_load_dwordx4 v[4:7], v[13:14] off glc	
s_waitcnt vmcnt(0)
	;;#ASMEND
	v_and_b32_e32 v7, 0xff, v5
	v_and_b32_e32 v70, 0xff00, v5
	;; [unrolled: 1-line block ×3, first 2 shown]
	v_or3_b32 v4, v4, 0, 0
	v_and_b32_e32 v5, 0xff000000, v5
	s_delay_alu instid0(VALU_DEP_4) | instskip(SKIP_1) | instid1(VALU_DEP_4)
	v_or3_b32 v7, 0, v7, v70
	v_and_b32_e32 v70, 0xff, v6
	v_or3_b32 v4, v4, 0, 0
	s_delay_alu instid0(VALU_DEP_3) | instskip(NEXT) | instid1(VALU_DEP_3)
	v_or3_b32 v5, v7, v71, v5
	v_cmpx_eq_u16_e32 0, v70
	s_cbranch_execz .LBB21_398
; %bb.395:                              ;   in Loop: Header=BB21_393 Depth=1
	s_mov_b32 s27, 0
.LBB21_396:                             ;   Parent Loop BB21_393 Depth=1
                                        ; =>  This Inner Loop Header: Depth=2
	;;#ASMSTART
	global_load_dwordx4 v[4:7], v[13:14] off glc	
s_waitcnt vmcnt(0)
	;;#ASMEND
	v_and_b32_e32 v7, 0xff, v6
	s_delay_alu instid0(VALU_DEP_1) | instskip(SKIP_1) | instid1(SALU_CYCLE_1)
	v_cmp_ne_u16_e32 vcc_lo, 0, v7
	s_or_b32 s27, vcc_lo, s27
	s_and_not1_b32 exec_lo, exec_lo, s27
	s_cbranch_execnz .LBB21_396
; %bb.397:                              ;   in Loop: Header=BB21_393 Depth=1
	s_or_b32 exec_lo, exec_lo, s27
.LBB21_398:                             ;   in Loop: Header=BB21_393 Depth=1
	s_delay_alu instid0(SALU_CYCLE_1)
	s_or_b32 exec_lo, exec_lo, s26
	v_and_b32_e32 v7, 0xff, v6
	ds_bpermute_b32 v70, v60, v4
	ds_bpermute_b32 v14, v60, v5
	v_mov_b32_e32 v13, v4
	s_mov_b32 s26, exec_lo
	v_cmp_eq_u16_e32 vcc_lo, 2, v7
	v_and_or_b32 v7, vcc_lo, v61, 0x80000000
	s_delay_alu instid0(VALU_DEP_1) | instskip(NEXT) | instid1(VALU_DEP_1)
	v_ctz_i32_b32_e32 v7, v7
	v_cmpx_lt_u32_e64 v58, v7
	s_cbranch_execz .LBB21_400
; %bb.399:                              ;   in Loop: Header=BB21_393 Depth=1
	s_waitcnt lgkmcnt(1)
	v_add_co_u32 v13, vcc_lo, v4, v70
	v_add_co_ci_u32_e32 v5, vcc_lo, 0, v5, vcc_lo
	s_delay_alu instid0(VALU_DEP_2) | instskip(SKIP_1) | instid1(VALU_DEP_2)
	v_add_co_u32 v4, vcc_lo, 0, v13
	s_waitcnt lgkmcnt(0)
	v_add_co_ci_u32_e32 v5, vcc_lo, v14, v5, vcc_lo
.LBB21_400:                             ;   in Loop: Header=BB21_393 Depth=1
	s_or_b32 exec_lo, exec_lo, s26
	s_waitcnt lgkmcnt(1)
	ds_bpermute_b32 v70, v62, v13
	s_waitcnt lgkmcnt(1)
	ds_bpermute_b32 v14, v62, v5
	s_mov_b32 s26, exec_lo
	v_cmpx_le_u32_e64 v63, v7
	s_cbranch_execz .LBB21_402
; %bb.401:                              ;   in Loop: Header=BB21_393 Depth=1
	s_waitcnt lgkmcnt(1)
	v_add_co_u32 v13, vcc_lo, v4, v70
	v_add_co_ci_u32_e32 v5, vcc_lo, 0, v5, vcc_lo
	s_delay_alu instid0(VALU_DEP_2) | instskip(SKIP_1) | instid1(VALU_DEP_2)
	v_add_co_u32 v4, vcc_lo, 0, v13
	s_waitcnt lgkmcnt(0)
	v_add_co_ci_u32_e32 v5, vcc_lo, v14, v5, vcc_lo
.LBB21_402:                             ;   in Loop: Header=BB21_393 Depth=1
	s_or_b32 exec_lo, exec_lo, s26
	s_waitcnt lgkmcnt(1)
	ds_bpermute_b32 v70, v64, v13
	s_waitcnt lgkmcnt(1)
	ds_bpermute_b32 v14, v64, v5
	s_mov_b32 s26, exec_lo
	v_cmpx_le_u32_e64 v65, v7
	;; [unrolled: 17-line block ×3, first 2 shown]
	s_cbranch_execz .LBB21_406
; %bb.405:                              ;   in Loop: Header=BB21_393 Depth=1
	s_waitcnt lgkmcnt(1)
	v_add_co_u32 v13, vcc_lo, v4, v70
	v_add_co_ci_u32_e32 v5, vcc_lo, 0, v5, vcc_lo
	s_delay_alu instid0(VALU_DEP_2) | instskip(SKIP_1) | instid1(VALU_DEP_2)
	v_add_co_u32 v4, vcc_lo, 0, v13
	s_waitcnt lgkmcnt(0)
	v_add_co_ci_u32_e32 v5, vcc_lo, v14, v5, vcc_lo
.LBB21_406:                             ;   in Loop: Header=BB21_393 Depth=1
	s_or_b32 exec_lo, exec_lo, s26
	s_waitcnt lgkmcnt(0)
	ds_bpermute_b32 v14, v68, v13
	ds_bpermute_b32 v13, v68, v5
	s_mov_b32 s26, exec_lo
	v_cmpx_le_u32_e64 v69, v7
	s_cbranch_execz .LBB21_392
; %bb.407:                              ;   in Loop: Header=BB21_393 Depth=1
	s_waitcnt lgkmcnt(1)
	v_add_co_u32 v4, vcc_lo, v4, v14
	v_add_co_ci_u32_e32 v5, vcc_lo, 0, v5, vcc_lo
	s_delay_alu instid0(VALU_DEP_2) | instskip(SKIP_1) | instid1(VALU_DEP_2)
	v_add_co_u32 v4, vcc_lo, v4, 0
	s_waitcnt lgkmcnt(0)
	v_add_co_ci_u32_e32 v5, vcc_lo, v5, v13, vcc_lo
	s_branch .LBB21_392
.LBB21_408:                             ;   in Loop: Header=BB21_393 Depth=1
                                        ; implicit-def: $vgpr4_vgpr5
	s_cbranch_execz .LBB21_393
; %bb.409:
	s_and_saveexec_b32 s26, s22
	s_cbranch_execz .LBB21_411
; %bb.410:
	s_add_i32 s30, s30, 32
	s_mov_b32 s31, 0
	v_add_co_u32 v4, vcc_lo, v2, v0
	s_lshl_b64 s[30:31], s[30:31], 4
	v_dual_mov_b32 v6, 2 :: v_dual_mov_b32 v7, 0
	s_add_u32 s30, s28, s30
	s_addc_u32 s31, s29, s31
	v_add_co_ci_u32_e32 v5, vcc_lo, v3, v1, vcc_lo
	v_dual_mov_b32 v11, s30 :: v_dual_mov_b32 v12, s31
	;;#ASMSTART
	global_store_dwordx4 v[11:12], v[4:7] off	
s_waitcnt vmcnt(0)
	;;#ASMEND
	ds_store_b128 v7, v[0:3] offset:64
.LBB21_411:
	s_or_b32 exec_lo, exec_lo, s26
	s_delay_alu instid0(SALU_CYCLE_1)
	s_and_b32 exec_lo, exec_lo, s1
	s_cbranch_execz .LBB21_413
; %bb.412:
	v_mov_b32_e32 v0, 0
	ds_store_b64 v0, v[2:3] offset:56
.LBB21_413:
	s_or_b32 exec_lo, exec_lo, s23
	v_mov_b32_e32 v0, 0
	s_waitcnt lgkmcnt(0)
	s_barrier
	buffer_gl0_inv
	ds_load_b64 v[4:5], v0 offset:56
	s_waitcnt lgkmcnt(0)
	s_barrier
	buffer_gl0_inv
	ds_load_b128 v[0:3], v0 offset:64
	s_waitcnt lgkmcnt(0)
	v_cndmask_b32_e64 v1, v59, v10, s22
	s_delay_alu instid0(VALU_DEP_1) | instskip(NEXT) | instid1(VALU_DEP_1)
	v_cndmask_b32_e64 v1, v1, 0, s1
	v_add_co_u32 v4, vcc_lo, v4, v1
	s_branch .LBB21_440
.LBB21_414:
                                        ; implicit-def: $vgpr2_vgpr3
                                        ; implicit-def: $vgpr4_vgpr5
	s_cbranch_execz .LBB21_440
; %bb.415:
	v_dual_mov_b32 v2, 0 :: v_dual_and_b32 v3, 15, v58
	s_delay_alu instid0(VALU_DEP_2) | instskip(SKIP_1) | instid1(VALU_DEP_3)
	v_mov_b32_dpp v5, v8 row_shr:1 row_mask:0xf bank_mask:0xf
	v_dual_mov_b32 v0, v8 :: v_dual_mov_b32 v1, v9
	v_mov_b32_dpp v4, v2 row_shr:1 row_mask:0xf bank_mask:0xf
	s_mov_b32 s22, exec_lo
	v_cmpx_ne_u32_e32 0, v3
; %bb.416:
	v_add_co_u32 v8, s23, v5, v8
	s_delay_alu instid0(VALU_DEP_1) | instskip(NEXT) | instid1(VALU_DEP_2)
	v_add_co_ci_u32_e64 v0, null, 0, 0, s23
	v_add_co_u32 v1, vcc_lo, 0, v8
	s_delay_alu instid0(VALU_DEP_2) | instskip(NEXT) | instid1(VALU_DEP_2)
	v_add_co_ci_u32_e32 v2, vcc_lo, v4, v0, vcc_lo
	v_mov_b32_e32 v0, v1
	s_delay_alu instid0(VALU_DEP_2)
	v_mov_b32_e32 v1, v2
; %bb.417:
	s_or_b32 exec_lo, exec_lo, s22
	v_mov_b32_dpp v5, v8 row_shr:2 row_mask:0xf bank_mask:0xf
	v_mov_b32_dpp v4, v2 row_shr:2 row_mask:0xf bank_mask:0xf
	s_mov_b32 s22, exec_lo
	v_cmpx_lt_u32_e32 1, v3
; %bb.418:
	s_delay_alu instid0(VALU_DEP_3) | instskip(SKIP_1) | instid1(VALU_DEP_2)
	v_add_co_u32 v8, vcc_lo, v0, v5
	v_add_co_ci_u32_e32 v0, vcc_lo, 0, v1, vcc_lo
	v_add_co_u32 v1, vcc_lo, 0, v8
	s_delay_alu instid0(VALU_DEP_2) | instskip(NEXT) | instid1(VALU_DEP_2)
	v_add_co_ci_u32_e32 v2, vcc_lo, v4, v0, vcc_lo
	v_mov_b32_e32 v0, v1
	s_delay_alu instid0(VALU_DEP_2)
	v_mov_b32_e32 v1, v2
; %bb.419:
	s_or_b32 exec_lo, exec_lo, s22
	v_mov_b32_dpp v5, v8 row_shr:4 row_mask:0xf bank_mask:0xf
	v_mov_b32_dpp v4, v2 row_shr:4 row_mask:0xf bank_mask:0xf
	s_mov_b32 s22, exec_lo
	v_cmpx_lt_u32_e32 3, v3
; %bb.420:
	s_delay_alu instid0(VALU_DEP_3) | instskip(SKIP_1) | instid1(VALU_DEP_2)
	v_add_co_u32 v8, vcc_lo, v0, v5
	v_add_co_ci_u32_e32 v0, vcc_lo, 0, v1, vcc_lo
	;; [unrolled: 16-line block ×3, first 2 shown]
	v_add_co_u32 v0, vcc_lo, 0, v8
	s_delay_alu instid0(VALU_DEP_2) | instskip(NEXT) | instid1(VALU_DEP_1)
	v_add_co_ci_u32_e32 v1, vcc_lo, v4, v1, vcc_lo
	v_mov_b32_e32 v2, v1
; %bb.423:
	s_or_b32 exec_lo, exec_lo, s22
	ds_swizzle_b32 v3, v8 offset:swizzle(BROADCAST,32,15)
	ds_swizzle_b32 v2, v2 offset:swizzle(BROADCAST,32,15)
	v_and_b32_e32 v4, 16, v58
	s_mov_b32 s22, exec_lo
	s_delay_alu instid0(VALU_DEP_1)
	v_cmpx_ne_u32_e32 0, v4
	s_cbranch_execz .LBB21_425
; %bb.424:
	s_waitcnt lgkmcnt(1)
	v_add_co_u32 v8, vcc_lo, v0, v3
	v_add_co_ci_u32_e32 v1, vcc_lo, 0, v1, vcc_lo
	s_delay_alu instid0(VALU_DEP_2) | instskip(SKIP_1) | instid1(VALU_DEP_2)
	v_add_co_u32 v0, vcc_lo, 0, v8
	s_waitcnt lgkmcnt(0)
	v_add_co_ci_u32_e32 v1, vcc_lo, v2, v1, vcc_lo
.LBB21_425:
	s_or_b32 exec_lo, exec_lo, s22
	s_waitcnt lgkmcnt(0)
	v_and_b32_e32 v2, 0x3e0, v16
	v_lshrrev_b32_e32 v4, 5, v16
	s_mov_b32 s22, exec_lo
	s_delay_alu instid0(VALU_DEP_2) | instskip(NEXT) | instid1(VALU_DEP_1)
	v_min_u32_e32 v2, 0xe0, v2
	v_or_b32_e32 v2, 31, v2
	s_delay_alu instid0(VALU_DEP_1)
	v_cmpx_eq_u32_e64 v2, v16
	s_cbranch_execz .LBB21_427
; %bb.426:
	v_lshlrev_b32_e32 v2, 3, v4
	ds_store_b64 v2, v[0:1]
.LBB21_427:
	s_or_b32 exec_lo, exec_lo, s22
	s_delay_alu instid0(SALU_CYCLE_1)
	s_mov_b32 s22, exec_lo
	s_waitcnt lgkmcnt(0)
	s_barrier
	buffer_gl0_inv
	v_cmpx_gt_u32_e32 8, v16
	s_cbranch_execz .LBB21_435
; %bb.428:
	v_lshlrev_b32_e32 v2, 3, v16
	v_and_b32_e32 v3, 7, v58
	s_mov_b32 s23, exec_lo
	ds_load_b64 v[0:1], v2
	s_waitcnt lgkmcnt(0)
	v_mov_b32_e32 v5, v0
	v_mov_b32_dpp v7, v0 row_shr:1 row_mask:0xf bank_mask:0xf
	v_mov_b32_dpp v6, v1 row_shr:1 row_mask:0xf bank_mask:0xf
	v_cmpx_ne_u32_e32 0, v3
; %bb.429:
	s_delay_alu instid0(VALU_DEP_3) | instskip(SKIP_1) | instid1(VALU_DEP_2)
	v_add_co_u32 v5, vcc_lo, v0, v7
	v_add_co_ci_u32_e32 v1, vcc_lo, 0, v1, vcc_lo
	v_add_co_u32 v0, vcc_lo, 0, v5
	s_delay_alu instid0(VALU_DEP_2)
	v_add_co_ci_u32_e32 v1, vcc_lo, v6, v1, vcc_lo
; %bb.430:
	s_or_b32 exec_lo, exec_lo, s23
	v_mov_b32_dpp v7, v5 row_shr:2 row_mask:0xf bank_mask:0xf
	s_delay_alu instid0(VALU_DEP_2)
	v_mov_b32_dpp v6, v1 row_shr:2 row_mask:0xf bank_mask:0xf
	s_mov_b32 s23, exec_lo
	v_cmpx_lt_u32_e32 1, v3
; %bb.431:
	s_delay_alu instid0(VALU_DEP_3) | instskip(SKIP_1) | instid1(VALU_DEP_2)
	v_add_co_u32 v5, vcc_lo, v0, v7
	v_add_co_ci_u32_e32 v1, vcc_lo, 0, v1, vcc_lo
	v_add_co_u32 v0, vcc_lo, 0, v5
	s_delay_alu instid0(VALU_DEP_2)
	v_add_co_ci_u32_e32 v1, vcc_lo, v6, v1, vcc_lo
; %bb.432:
	s_or_b32 exec_lo, exec_lo, s23
	v_mov_b32_dpp v6, v5 row_shr:4 row_mask:0xf bank_mask:0xf
	s_delay_alu instid0(VALU_DEP_2)
	v_mov_b32_dpp v5, v1 row_shr:4 row_mask:0xf bank_mask:0xf
	s_mov_b32 s23, exec_lo
	v_cmpx_lt_u32_e32 3, v3
; %bb.433:
	s_delay_alu instid0(VALU_DEP_3) | instskip(SKIP_1) | instid1(VALU_DEP_2)
	v_add_co_u32 v0, vcc_lo, v0, v6
	v_add_co_ci_u32_e32 v1, vcc_lo, 0, v1, vcc_lo
	v_add_co_u32 v0, vcc_lo, v0, 0
	s_delay_alu instid0(VALU_DEP_2)
	v_add_co_ci_u32_e32 v1, vcc_lo, v1, v5, vcc_lo
; %bb.434:
	s_or_b32 exec_lo, exec_lo, s23
	ds_store_b64 v2, v[0:1]
.LBB21_435:
	s_or_b32 exec_lo, exec_lo, s22
	s_delay_alu instid0(SALU_CYCLE_1)
	s_mov_b32 s22, exec_lo
	v_mov_b32_e32 v2, 0
	v_mov_b32_e32 v3, 0
	s_waitcnt lgkmcnt(0)
	s_barrier
	buffer_gl0_inv
	v_cmpx_lt_u32_e32 31, v16
	s_cbranch_execz .LBB21_437
; %bb.436:
	v_lshl_add_u32 v0, v4, 3, -8
	ds_load_b64 v[2:3], v0
.LBB21_437:
	s_or_b32 exec_lo, exec_lo, s22
	s_waitcnt lgkmcnt(0)
	v_dual_mov_b32 v3, 0 :: v_dual_add_nc_u32 v0, -1, v58
	v_add_nc_u32_e32 v1, v8, v2
	s_delay_alu instid0(VALU_DEP_2) | instskip(SKIP_2) | instid1(VALU_DEP_2)
	v_cmp_gt_i32_e32 vcc_lo, 0, v0
	v_cndmask_b32_e32 v0, v0, v58, vcc_lo
	v_cmp_eq_u32_e32 vcc_lo, 0, v58
	v_lshlrev_b32_e32 v0, 2, v0
	ds_bpermute_b32 v4, v0, v1
	ds_load_b64 v[0:1], v3 offset:56
	s_waitcnt lgkmcnt(1)
	v_cndmask_b32_e32 v4, v4, v2, vcc_lo
	s_and_saveexec_b32 s22, s1
	s_cbranch_execz .LBB21_439
; %bb.438:
	s_add_u32 s26, s28, 0x200
	s_addc_u32 s27, s29, 0
	v_dual_mov_b32 v2, 2 :: v_dual_mov_b32 v5, s26
	v_mov_b32_e32 v6, s27
	s_waitcnt lgkmcnt(0)
	;;#ASMSTART
	global_store_dwordx4 v[5:6], v[0:3] off	
s_waitcnt vmcnt(0)
	;;#ASMEND
.LBB21_439:
	s_or_b32 exec_lo, exec_lo, s22
	v_mov_b32_e32 v2, 0
	v_mov_b32_e32 v3, 0
.LBB21_440:
	s_waitcnt lgkmcnt(0)
	s_delay_alu instid0(VALU_DEP_1)
	v_sub_nc_u32_e32 v1, v4, v2
	s_barrier
	buffer_gl0_inv
	s_and_saveexec_b32 s1, s21
	s_cbranch_execnz .LBB21_471
; %bb.441:
	s_or_b32 exec_lo, exec_lo, s1
	s_and_saveexec_b32 s0, s20
	s_cbranch_execnz .LBB21_472
.LBB21_442:
	s_or_b32 exec_lo, exec_lo, s0
	s_and_saveexec_b32 s0, s19
	s_cbranch_execnz .LBB21_473
.LBB21_443:
	s_or_b32 exec_lo, exec_lo, s0
	s_and_saveexec_b32 s0, s18
	s_cbranch_execnz .LBB21_474
.LBB21_444:
	s_or_b32 exec_lo, exec_lo, s0
	s_and_saveexec_b32 s0, s17
	s_cbranch_execnz .LBB21_475
.LBB21_445:
	s_or_b32 exec_lo, exec_lo, s0
	s_and_saveexec_b32 s0, s16
	s_cbranch_execz .LBB21_447
.LBB21_446:
	v_cndmask_b32_e64 v4, v28, v29, s6
	v_lshlrev_b32_e32 v5, 2, v1
	v_add_nc_u32_e32 v1, 1, v1
	ds_store_b32 v5, v4 offset:1024
.LBB21_447:
	s_or_b32 exec_lo, exec_lo, s0
	v_and_b32_e32 v4, 64, v57
	s_mov_b32 s0, exec_lo
	s_delay_alu instid0(VALU_DEP_1)
	v_cmpx_ne_u32_e32 0, v4
	s_cbranch_execz .LBB21_449
; %bb.448:
	v_cndmask_b32_e64 v4, v30, v31, s7
	v_lshlrev_b32_e32 v5, 2, v1
	v_add_nc_u32_e32 v1, 1, v1
	ds_store_b32 v5, v4 offset:1024
.LBB21_449:
	s_or_b32 exec_lo, exec_lo, s0
	v_and_b32_e32 v4, 0x80, v56
	s_mov_b32 s0, exec_lo
	s_delay_alu instid0(VALU_DEP_1)
	v_cmpx_ne_u32_e32 0, v4
	s_cbranch_execz .LBB21_451
; %bb.450:
	v_cndmask_b32_e64 v4, v32, v33, s8
	v_lshlrev_b32_e32 v5, 2, v1
	v_add_nc_u32_e32 v1, 1, v1
	ds_store_b32 v5, v4 offset:1024
.LBB21_451:
	;; [unrolled: 12-line block ×9, first 2 shown]
	s_or_b32 exec_lo, exec_lo, s0
	v_and_b32_e32 v4, 0x8000, v52
	s_mov_b32 s2, exec_lo
	s_delay_alu instid0(VALU_DEP_1)
	v_cmpx_ne_u32_e32 0, v4
	s_cbranch_execz .LBB21_467
; %bb.466:
	v_cmp_lt_i32_e32 vcc_lo, v50, v48
	v_cmp_lt_i32_e64 s0, v51, v17
	v_cmp_ge_i32_e64 s1, v49, v15
	v_lshlrev_b32_e32 v1, 2, v1
	s_delay_alu instid0(VALU_DEP_3)
	s_and_b32 s0, s0, vcc_lo
	s_delay_alu instid0(VALU_DEP_2) | instid1(SALU_CYCLE_1)
	s_or_b32 vcc_lo, s1, s0
	v_cndmask_b32_e32 v4, v48, v50, vcc_lo
	ds_store_b32 v1, v4 offset:1024
.LBB21_467:
	s_or_b32 exec_lo, exec_lo, s2
	s_waitcnt lgkmcnt(0)
	s_barrier
	buffer_gl0_inv
	s_mov_b32 s0, exec_lo
	v_cmpx_lt_i32_e64 v16, v0
	s_cbranch_execz .LBB21_470
; %bb.468:
	v_lshlrev_b64 v[1:2], 2, v[2:3]
	v_lshlrev_b32_e32 v4, 2, v16
	v_lshl_add_u32 v3, v16, 2, 0x400
	s_mov_b32 s1, 0
	s_delay_alu instid0(VALU_DEP_3) | instskip(NEXT) | instid1(VALU_DEP_4)
	v_add_co_u32 v1, vcc_lo, s24, v1
	v_add_co_ci_u32_e32 v2, vcc_lo, s25, v2, vcc_lo
	s_delay_alu instid0(VALU_DEP_2) | instskip(NEXT) | instid1(VALU_DEP_2)
	v_add_co_u32 v1, vcc_lo, v1, v4
	v_add_co_ci_u32_e32 v2, vcc_lo, 0, v2, vcc_lo
	.p2align	6
.LBB21_469:                             ; =>This Inner Loop Header: Depth=1
	ds_load_b32 v4, v3
	v_add_nc_u32_e32 v16, 0x100, v16
	v_add_nc_u32_e32 v3, 0x400, v3
	s_delay_alu instid0(VALU_DEP_2) | instskip(SKIP_4) | instid1(VALU_DEP_1)
	v_cmp_ge_i32_e32 vcc_lo, v16, v0
	s_or_b32 s1, vcc_lo, s1
	s_waitcnt lgkmcnt(0)
	global_store_b32 v[1:2], v4, off
	v_add_co_u32 v1, s0, 0x400, v1
	v_add_co_ci_u32_e64 v2, s0, 0, v2, s0
	s_and_not1_b32 exec_lo, exec_lo, s1
	s_cbranch_execnz .LBB21_469
.LBB21_470:
	s_nop 0
	s_sendmsg sendmsg(MSG_DEALLOC_VGPRS)
	s_endpgm
.LBB21_471:
	v_add_nc_u32_e32 v4, 1, v1
	v_cndmask_b32_e64 v5, v18, v19, s0
	s_delay_alu instid0(VALU_DEP_2)
	v_dual_mov_b32 v1, v4 :: v_dual_lshlrev_b32 v6, 2, v1
	ds_store_b32 v6, v5 offset:1024
	s_or_b32 exec_lo, exec_lo, s1
	s_and_saveexec_b32 s0, s20
	s_cbranch_execz .LBB21_442
.LBB21_472:
	v_cndmask_b32_e64 v4, v20, v21, s2
	v_lshlrev_b32_e32 v5, 2, v1
	v_add_nc_u32_e32 v1, 1, v1
	ds_store_b32 v5, v4 offset:1024
	s_or_b32 exec_lo, exec_lo, s0
	s_and_saveexec_b32 s0, s19
	s_cbranch_execz .LBB21_443
.LBB21_473:
	v_cndmask_b32_e64 v4, v22, v23, s3
	v_lshlrev_b32_e32 v5, 2, v1
	v_add_nc_u32_e32 v1, 1, v1
	ds_store_b32 v5, v4 offset:1024
	s_or_b32 exec_lo, exec_lo, s0
	s_and_saveexec_b32 s0, s18
	s_cbranch_execz .LBB21_444
.LBB21_474:
	v_cndmask_b32_e64 v4, v24, v25, s4
	v_lshlrev_b32_e32 v5, 2, v1
	v_add_nc_u32_e32 v1, 1, v1
	ds_store_b32 v5, v4 offset:1024
	s_or_b32 exec_lo, exec_lo, s0
	s_and_saveexec_b32 s0, s17
	s_cbranch_execz .LBB21_445
.LBB21_475:
	v_cndmask_b32_e64 v4, v26, v27, s5
	v_lshlrev_b32_e32 v5, 2, v1
	v_add_nc_u32_e32 v1, 1, v1
	ds_store_b32 v5, v4 offset:1024
	s_or_b32 exec_lo, exec_lo, s0
	s_and_saveexec_b32 s0, s16
	s_cbranch_execnz .LBB21_446
	s_branch .LBB21_447
	.section	.rodata,"a",@progbits
	.p2align	6, 0x0
	.amdhsa_kernel _ZN6thrust23THRUST_200600_302600_NS11hip_rocprim16__set_operations22lookback_set_op_kernelIN7rocprim17ROCPRIM_400000_NS13kernel_configILj256ELj16ELj4294967295EEELb0ENS0_6detail15normal_iteratorINS0_10device_ptrIKiEEEESD_PiSE_lNS9_INSA_IiEEEESE_NS0_4lessIiEENS2_16serial_set_unionENS5_6detail19lookback_scan_stateIlLb0ELb1EEEEEvT1_T2_T3_T4_T6_T7_T8_T9_PNS0_4pairIT5_SW_EEPSW_T10_NSK_16ordered_block_idIjEE
		.amdhsa_group_segment_fixed_size 36868
		.amdhsa_private_segment_fixed_size 0
		.amdhsa_kernarg_size 344
		.amdhsa_user_sgpr_count 15
		.amdhsa_user_sgpr_dispatch_ptr 0
		.amdhsa_user_sgpr_queue_ptr 0
		.amdhsa_user_sgpr_kernarg_segment_ptr 1
		.amdhsa_user_sgpr_dispatch_id 0
		.amdhsa_user_sgpr_private_segment_size 0
		.amdhsa_wavefront_size32 1
		.amdhsa_uses_dynamic_stack 0
		.amdhsa_enable_private_segment 0
		.amdhsa_system_sgpr_workgroup_id_x 1
		.amdhsa_system_sgpr_workgroup_id_y 0
		.amdhsa_system_sgpr_workgroup_id_z 0
		.amdhsa_system_sgpr_workgroup_info 0
		.amdhsa_system_vgpr_workitem_id 2
		.amdhsa_next_free_vgpr 78
		.amdhsa_next_free_sgpr 36
		.amdhsa_reserve_vcc 1
		.amdhsa_float_round_mode_32 0
		.amdhsa_float_round_mode_16_64 0
		.amdhsa_float_denorm_mode_32 3
		.amdhsa_float_denorm_mode_16_64 3
		.amdhsa_dx10_clamp 1
		.amdhsa_ieee_mode 1
		.amdhsa_fp16_overflow 0
		.amdhsa_workgroup_processor_mode 1
		.amdhsa_memory_ordered 1
		.amdhsa_forward_progress 0
		.amdhsa_shared_vgpr_count 0
		.amdhsa_exception_fp_ieee_invalid_op 0
		.amdhsa_exception_fp_denorm_src 0
		.amdhsa_exception_fp_ieee_div_zero 0
		.amdhsa_exception_fp_ieee_overflow 0
		.amdhsa_exception_fp_ieee_underflow 0
		.amdhsa_exception_fp_ieee_inexact 0
		.amdhsa_exception_int_div_zero 0
	.end_amdhsa_kernel
	.section	.text._ZN6thrust23THRUST_200600_302600_NS11hip_rocprim16__set_operations22lookback_set_op_kernelIN7rocprim17ROCPRIM_400000_NS13kernel_configILj256ELj16ELj4294967295EEELb0ENS0_6detail15normal_iteratorINS0_10device_ptrIKiEEEESD_PiSE_lNS9_INSA_IiEEEESE_NS0_4lessIiEENS2_16serial_set_unionENS5_6detail19lookback_scan_stateIlLb0ELb1EEEEEvT1_T2_T3_T4_T6_T7_T8_T9_PNS0_4pairIT5_SW_EEPSW_T10_NSK_16ordered_block_idIjEE,"axG",@progbits,_ZN6thrust23THRUST_200600_302600_NS11hip_rocprim16__set_operations22lookback_set_op_kernelIN7rocprim17ROCPRIM_400000_NS13kernel_configILj256ELj16ELj4294967295EEELb0ENS0_6detail15normal_iteratorINS0_10device_ptrIKiEEEESD_PiSE_lNS9_INSA_IiEEEESE_NS0_4lessIiEENS2_16serial_set_unionENS5_6detail19lookback_scan_stateIlLb0ELb1EEEEEvT1_T2_T3_T4_T6_T7_T8_T9_PNS0_4pairIT5_SW_EEPSW_T10_NSK_16ordered_block_idIjEE,comdat
.Lfunc_end21:
	.size	_ZN6thrust23THRUST_200600_302600_NS11hip_rocprim16__set_operations22lookback_set_op_kernelIN7rocprim17ROCPRIM_400000_NS13kernel_configILj256ELj16ELj4294967295EEELb0ENS0_6detail15normal_iteratorINS0_10device_ptrIKiEEEESD_PiSE_lNS9_INSA_IiEEEESE_NS0_4lessIiEENS2_16serial_set_unionENS5_6detail19lookback_scan_stateIlLb0ELb1EEEEEvT1_T2_T3_T4_T6_T7_T8_T9_PNS0_4pairIT5_SW_EEPSW_T10_NSK_16ordered_block_idIjEE, .Lfunc_end21-_ZN6thrust23THRUST_200600_302600_NS11hip_rocprim16__set_operations22lookback_set_op_kernelIN7rocprim17ROCPRIM_400000_NS13kernel_configILj256ELj16ELj4294967295EEELb0ENS0_6detail15normal_iteratorINS0_10device_ptrIKiEEEESD_PiSE_lNS9_INSA_IiEEEESE_NS0_4lessIiEENS2_16serial_set_unionENS5_6detail19lookback_scan_stateIlLb0ELb1EEEEEvT1_T2_T3_T4_T6_T7_T8_T9_PNS0_4pairIT5_SW_EEPSW_T10_NSK_16ordered_block_idIjEE
                                        ; -- End function
	.section	.AMDGPU.csdata,"",@progbits
; Kernel info:
; codeLenInByte = 23024
; NumSgprs: 38
; NumVgprs: 78
; ScratchSize: 0
; MemoryBound: 0
; FloatMode: 240
; IeeeMode: 1
; LDSByteSize: 36868 bytes/workgroup (compile time only)
; SGPRBlocks: 4
; VGPRBlocks: 9
; NumSGPRsForWavesPerEU: 38
; NumVGPRsForWavesPerEU: 78
; Occupancy: 6
; WaveLimiterHint : 1
; COMPUTE_PGM_RSRC2:SCRATCH_EN: 0
; COMPUTE_PGM_RSRC2:USER_SGPR: 15
; COMPUTE_PGM_RSRC2:TRAP_HANDLER: 0
; COMPUTE_PGM_RSRC2:TGID_X_EN: 1
; COMPUTE_PGM_RSRC2:TGID_Y_EN: 0
; COMPUTE_PGM_RSRC2:TGID_Z_EN: 0
; COMPUTE_PGM_RSRC2:TIDIG_COMP_CNT: 2
	.section	.text._ZN6thrust23THRUST_200600_302600_NS11hip_rocprim14__parallel_for6kernelILj256EZNS1_16__set_operations9doit_stepILb0ENS0_6detail15normal_iteratorINS0_10device_ptrIKiEEEESB_PiSC_lNS7_INS8_IiEEEESC_NS0_4lessIiEENS4_23serial_set_intersectionEEE10hipError_tPvRmT0_T1_T2_T3_T4_SP_T5_T6_PSP_T7_T8_P12ihipStream_tbEUllE_jLj1EEEvSL_SM_SM_,"axG",@progbits,_ZN6thrust23THRUST_200600_302600_NS11hip_rocprim14__parallel_for6kernelILj256EZNS1_16__set_operations9doit_stepILb0ENS0_6detail15normal_iteratorINS0_10device_ptrIKiEEEESB_PiSC_lNS7_INS8_IiEEEESC_NS0_4lessIiEENS4_23serial_set_intersectionEEE10hipError_tPvRmT0_T1_T2_T3_T4_SP_T5_T6_PSP_T7_T8_P12ihipStream_tbEUllE_jLj1EEEvSL_SM_SM_,comdat
	.protected	_ZN6thrust23THRUST_200600_302600_NS11hip_rocprim14__parallel_for6kernelILj256EZNS1_16__set_operations9doit_stepILb0ENS0_6detail15normal_iteratorINS0_10device_ptrIKiEEEESB_PiSC_lNS7_INS8_IiEEEESC_NS0_4lessIiEENS4_23serial_set_intersectionEEE10hipError_tPvRmT0_T1_T2_T3_T4_SP_T5_T6_PSP_T7_T8_P12ihipStream_tbEUllE_jLj1EEEvSL_SM_SM_ ; -- Begin function _ZN6thrust23THRUST_200600_302600_NS11hip_rocprim14__parallel_for6kernelILj256EZNS1_16__set_operations9doit_stepILb0ENS0_6detail15normal_iteratorINS0_10device_ptrIKiEEEESB_PiSC_lNS7_INS8_IiEEEESC_NS0_4lessIiEENS4_23serial_set_intersectionEEE10hipError_tPvRmT0_T1_T2_T3_T4_SP_T5_T6_PSP_T7_T8_P12ihipStream_tbEUllE_jLj1EEEvSL_SM_SM_
	.globl	_ZN6thrust23THRUST_200600_302600_NS11hip_rocprim14__parallel_for6kernelILj256EZNS1_16__set_operations9doit_stepILb0ENS0_6detail15normal_iteratorINS0_10device_ptrIKiEEEESB_PiSC_lNS7_INS8_IiEEEESC_NS0_4lessIiEENS4_23serial_set_intersectionEEE10hipError_tPvRmT0_T1_T2_T3_T4_SP_T5_T6_PSP_T7_T8_P12ihipStream_tbEUllE_jLj1EEEvSL_SM_SM_
	.p2align	8
	.type	_ZN6thrust23THRUST_200600_302600_NS11hip_rocprim14__parallel_for6kernelILj256EZNS1_16__set_operations9doit_stepILb0ENS0_6detail15normal_iteratorINS0_10device_ptrIKiEEEESB_PiSC_lNS7_INS8_IiEEEESC_NS0_4lessIiEENS4_23serial_set_intersectionEEE10hipError_tPvRmT0_T1_T2_T3_T4_SP_T5_T6_PSP_T7_T8_P12ihipStream_tbEUllE_jLj1EEEvSL_SM_SM_,@function
_ZN6thrust23THRUST_200600_302600_NS11hip_rocprim14__parallel_for6kernelILj256EZNS1_16__set_operations9doit_stepILb0ENS0_6detail15normal_iteratorINS0_10device_ptrIKiEEEESB_PiSC_lNS7_INS8_IiEEEESC_NS0_4lessIiEENS4_23serial_set_intersectionEEE10hipError_tPvRmT0_T1_T2_T3_T4_SP_T5_T6_PSP_T7_T8_P12ihipStream_tbEUllE_jLj1EEEvSL_SM_SM_: ; @_ZN6thrust23THRUST_200600_302600_NS11hip_rocprim14__parallel_for6kernelILj256EZNS1_16__set_operations9doit_stepILb0ENS0_6detail15normal_iteratorINS0_10device_ptrIKiEEEESB_PiSC_lNS7_INS8_IiEEEESC_NS0_4lessIiEENS4_23serial_set_intersectionEEE10hipError_tPvRmT0_T1_T2_T3_T4_SP_T5_T6_PSP_T7_T8_P12ihipStream_tbEUllE_jLj1EEEvSL_SM_SM_
; %bb.0:
	s_clause 0x2
	s_load_b64 s[12:13], s[0:1], 0x30
	s_load_b64 s[2:3], s[0:1], 0x20
	s_load_b256 s[4:11], s[0:1], 0x0
	s_lshl_b32 s1, s15, 8
	s_waitcnt lgkmcnt(0)
	s_add_i32 s1, s1, s13
	s_delay_alu instid0(SALU_CYCLE_1) | instskip(NEXT) | instid1(SALU_CYCLE_1)
	s_sub_i32 s0, s12, s1
	s_cmpk_lt_u32 s0, 0x100
	s_cbranch_scc0 .LBB22_12
; %bb.1:
	v_cmp_gt_u32_e32 vcc_lo, s0, v0
	s_mov_b32 s12, 0
	s_mov_b32 s0, 0
                                        ; implicit-def: $vgpr3_vgpr4
                                        ; implicit-def: $vgpr5_vgpr6
	s_and_saveexec_b32 s13, vcc_lo
	s_cbranch_execz .LBB22_13
; %bb.2:
	v_add_nc_u32_e32 v5, s1, v0
	s_add_u32 s14, s6, s4
	s_addc_u32 s15, s7, s5
	v_mov_b32_e32 v6, 0
	s_delay_alu instid0(VALU_DEP_2) | instskip(NEXT) | instid1(VALU_DEP_1)
	v_mad_u64_u32 v[1:2], null, 0xfff, v5, 0
	v_cmp_lt_i64_e32 vcc_lo, s[14:15], v[1:2]
	v_cndmask_b32_e64 v3, v1, s14, vcc_lo
	v_cndmask_b32_e64 v4, v2, s15, vcc_lo
	s_mov_b32 s14, 0
	s_delay_alu instid0(VALU_DEP_2) | instskip(NEXT) | instid1(VALU_DEP_2)
	v_sub_co_u32 v1, vcc_lo, v3, s6
	v_subrev_co_ci_u32_e32 v2, vcc_lo, s7, v4, vcc_lo
	v_cmp_lt_i64_e64 s0, s[4:5], v[3:4]
	s_delay_alu instid0(VALU_DEP_2) | instskip(NEXT) | instid1(VALU_DEP_2)
	v_cmp_lt_i64_e32 vcc_lo, 0, v[1:2]
	v_cndmask_b32_e64 v8, v4, s5, s0
	v_cndmask_b32_e64 v7, v3, s4, s0
	s_mov_b32 s0, exec_lo
	v_dual_cndmask_b32 v2, 0, v2 :: v_dual_cndmask_b32 v1, 0, v1
	s_delay_alu instid0(VALU_DEP_1)
	v_cmpx_lt_i64_e64 v[1:2], v[7:8]
	s_cbranch_execz .LBB22_6
; %bb.3:
	v_lshlrev_b64 v[9:10], 2, v[3:4]
	s_delay_alu instid0(VALU_DEP_1) | instskip(NEXT) | instid1(VALU_DEP_2)
	v_add_co_u32 v9, vcc_lo, s2, v9
	v_add_co_ci_u32_e32 v10, vcc_lo, s3, v10, vcc_lo
	s_set_inst_prefetch_distance 0x1
	.p2align	6
.LBB22_4:                               ; =>This Inner Loop Header: Depth=1
	v_add_co_u32 v11, vcc_lo, v7, v1
	v_add_co_ci_u32_e32 v12, vcc_lo, v8, v2, vcc_lo
	s_delay_alu instid0(VALU_DEP_1) | instskip(NEXT) | instid1(VALU_DEP_1)
	v_ashrrev_i64 v[11:12], 1, v[11:12]
	v_not_b32_e32 v14, v12
	s_delay_alu instid0(VALU_DEP_2) | instskip(SKIP_1) | instid1(VALU_DEP_2)
	v_not_b32_e32 v13, v11
	v_lshlrev_b64 v[15:16], 2, v[11:12]
	v_lshlrev_b64 v[13:14], 2, v[13:14]
	s_delay_alu instid0(VALU_DEP_2) | instskip(NEXT) | instid1(VALU_DEP_3)
	v_add_co_u32 v15, vcc_lo, s10, v15
	v_add_co_ci_u32_e32 v16, vcc_lo, s11, v16, vcc_lo
	s_delay_alu instid0(VALU_DEP_3) | instskip(NEXT) | instid1(VALU_DEP_4)
	v_add_co_u32 v13, vcc_lo, v9, v13
	v_add_co_ci_u32_e32 v14, vcc_lo, v10, v14, vcc_lo
	global_load_b32 v15, v[15:16], off
	global_load_b32 v13, v[13:14], off
	v_add_co_u32 v14, vcc_lo, v11, 1
	v_add_co_ci_u32_e32 v16, vcc_lo, 0, v12, vcc_lo
	s_waitcnt vmcnt(0)
	v_cmp_lt_i32_e32 vcc_lo, v13, v15
	v_dual_cndmask_b32 v8, v8, v12 :: v_dual_cndmask_b32 v7, v7, v11
	s_delay_alu instid0(VALU_DEP_3) | instskip(NEXT) | instid1(VALU_DEP_1)
	v_dual_cndmask_b32 v2, v16, v2 :: v_dual_cndmask_b32 v1, v14, v1
	v_cmp_ge_i64_e32 vcc_lo, v[1:2], v[7:8]
	s_or_b32 s14, vcc_lo, s14
	s_delay_alu instid0(SALU_CYCLE_1)
	s_and_not1_b32 exec_lo, exec_lo, s14
	s_cbranch_execnz .LBB22_4
; %bb.5:
	s_set_inst_prefetch_distance 0x2
	s_or_b32 exec_lo, exec_lo, s14
.LBB22_6:
	s_delay_alu instid0(SALU_CYCLE_1)
	s_or_b32 exec_lo, exec_lo, s0
	v_sub_co_u32 v11, vcc_lo, v3, v1
	v_mov_b32_e32 v9, 0
	v_sub_co_ci_u32_e32 v12, vcc_lo, v4, v2, vcc_lo
	v_mov_b32_e32 v10, 0
	s_mov_b32 s14, exec_lo
	s_delay_alu instid0(VALU_DEP_2)
	v_cmpx_gt_i64_e64 s[6:7], v[11:12]
	s_cbranch_execz .LBB22_38
; %bb.7:
	v_lshlrev_b64 v[7:8], 2, v[11:12]
	s_mov_b32 s0, exec_lo
	v_dual_mov_b32 v14, v2 :: v_dual_mov_b32 v13, v1
	s_delay_alu instid0(VALU_DEP_2) | instskip(NEXT) | instid1(VALU_DEP_3)
	v_add_co_u32 v9, vcc_lo, s2, v7
	v_add_co_ci_u32_e32 v10, vcc_lo, s3, v8, vcc_lo
	v_mov_b32_e32 v7, 0
	v_mov_b32_e32 v8, 0
	global_load_b32 v19, v[9:10], off
	v_cmpx_lt_i64_e32 0, v[1:2]
	s_cbranch_execnz .LBB22_14
; %bb.8:
	s_or_b32 exec_lo, exec_lo, s0
	s_delay_alu instid0(SALU_CYCLE_1)
	s_mov_b32 s0, exec_lo
	v_cmpx_lt_i64_e64 v[7:8], v[13:14]
	s_cbranch_execnz .LBB22_15
.LBB22_9:
	s_or_b32 exec_lo, exec_lo, s0
	s_delay_alu instid0(SALU_CYCLE_1)
	s_mov_b32 s0, exec_lo
	v_cmpx_lt_i64_e64 v[7:8], v[13:14]
	s_cbranch_execnz .LBB22_16
.LBB22_10:
	s_or_b32 exec_lo, exec_lo, s0
	s_delay_alu instid0(SALU_CYCLE_1)
	s_mov_b32 s0, exec_lo
	v_cmpx_lt_i64_e64 v[7:8], v[13:14]
	s_cbranch_execnz .LBB22_17
.LBB22_11:
	s_or_b32 exec_lo, exec_lo, s0
	s_delay_alu instid0(SALU_CYCLE_1)
	s_mov_b32 s0, exec_lo
	v_cmpx_lt_i64_e64 v[7:8], v[13:14]
	s_cbranch_execnz .LBB22_18
	s_branch .LBB22_21
.LBB22_12:
	s_mov_b32 s0, 0
                                        ; implicit-def: $vgpr3_vgpr4
                                        ; implicit-def: $vgpr5_vgpr6
	s_cbranch_execnz .LBB22_39
	s_branch .LBB22_74
.LBB22_13:
	s_or_b32 exec_lo, exec_lo, s13
	s_delay_alu instid0(SALU_CYCLE_1)
	s_and_b32 vcc_lo, exec_lo, s12
	s_cbranch_vccnz .LBB22_39
	s_branch .LBB22_74
.LBB22_14:
	v_mad_u64_u32 v[7:8], null, 0x1ff, v1, 0
	s_delay_alu instid0(VALU_DEP_1) | instskip(NEXT) | instid1(VALU_DEP_1)
	v_mad_u64_u32 v[13:14], null, 0x1ff, v2, v[8:9]
	v_mov_b32_e32 v8, v13
	s_delay_alu instid0(VALU_DEP_1) | instskip(NEXT) | instid1(VALU_DEP_1)
	v_lshrrev_b64 v[13:14], 9, v[7:8]
	v_lshlrev_b64 v[7:8], 2, v[13:14]
	s_delay_alu instid0(VALU_DEP_1) | instskip(NEXT) | instid1(VALU_DEP_2)
	v_add_co_u32 v7, vcc_lo, s10, v7
	v_add_co_ci_u32_e32 v8, vcc_lo, s11, v8, vcc_lo
	v_add_co_u32 v15, vcc_lo, v13, 1
	global_load_b32 v7, v[7:8], off
	v_add_co_ci_u32_e32 v8, vcc_lo, 0, v14, vcc_lo
	s_waitcnt vmcnt(0)
	v_cmp_lt_i32_e32 vcc_lo, v7, v19
	s_delay_alu instid0(VALU_DEP_2) | instskip(SKIP_2) | instid1(SALU_CYCLE_1)
	v_dual_cndmask_b32 v7, 0, v15 :: v_dual_cndmask_b32 v8, 0, v8
	v_dual_cndmask_b32 v13, v13, v1 :: v_dual_cndmask_b32 v14, v14, v2
	s_or_b32 exec_lo, exec_lo, s0
	s_mov_b32 s0, exec_lo
	s_delay_alu instid0(VALU_DEP_1)
	v_cmpx_lt_i64_e64 v[7:8], v[13:14]
	s_cbranch_execz .LBB22_9
.LBB22_15:
	v_mad_u64_u32 v[15:16], null, 0x7f, v13, v[7:8]
	s_delay_alu instid0(VALU_DEP_1) | instskip(NEXT) | instid1(VALU_DEP_1)
	v_mad_u64_u32 v[17:18], null, 0x7f, v14, v[16:17]
	v_mov_b32_e32 v16, v17
	s_delay_alu instid0(VALU_DEP_1) | instskip(NEXT) | instid1(VALU_DEP_1)
	v_lshrrev_b64 v[15:16], 7, v[15:16]
	v_lshlrev_b64 v[17:18], 2, v[15:16]
	s_delay_alu instid0(VALU_DEP_1) | instskip(NEXT) | instid1(VALU_DEP_2)
	v_add_co_u32 v17, vcc_lo, s10, v17
	v_add_co_ci_u32_e32 v18, vcc_lo, s11, v18, vcc_lo
	global_load_b32 v17, v[17:18], off
	v_add_co_u32 v18, vcc_lo, v15, 1
	v_add_co_ci_u32_e32 v20, vcc_lo, 0, v16, vcc_lo
	s_waitcnt vmcnt(0)
	v_cmp_lt_i32_e32 vcc_lo, v17, v19
	s_delay_alu instid0(VALU_DEP_2) | instskip(SKIP_2) | instid1(SALU_CYCLE_1)
	v_dual_cndmask_b32 v7, v7, v18 :: v_dual_cndmask_b32 v8, v8, v20
	v_dual_cndmask_b32 v13, v15, v13 :: v_dual_cndmask_b32 v14, v16, v14
	s_or_b32 exec_lo, exec_lo, s0
	s_mov_b32 s0, exec_lo
	s_delay_alu instid0(VALU_DEP_1)
	v_cmpx_lt_i64_e64 v[7:8], v[13:14]
	s_cbranch_execz .LBB22_10
.LBB22_16:
	v_mad_u64_u32 v[15:16], null, v13, 31, v[7:8]
	s_delay_alu instid0(VALU_DEP_1) | instskip(NEXT) | instid1(VALU_DEP_1)
	v_mad_u64_u32 v[17:18], null, v14, 31, v[16:17]
	v_mov_b32_e32 v16, v17
	s_delay_alu instid0(VALU_DEP_1) | instskip(NEXT) | instid1(VALU_DEP_1)
	v_lshrrev_b64 v[15:16], 5, v[15:16]
	v_lshlrev_b64 v[17:18], 2, v[15:16]
	s_delay_alu instid0(VALU_DEP_1) | instskip(NEXT) | instid1(VALU_DEP_2)
	v_add_co_u32 v17, vcc_lo, s10, v17
	v_add_co_ci_u32_e32 v18, vcc_lo, s11, v18, vcc_lo
	global_load_b32 v17, v[17:18], off
	v_add_co_u32 v18, vcc_lo, v15, 1
	v_add_co_ci_u32_e32 v20, vcc_lo, 0, v16, vcc_lo
	s_waitcnt vmcnt(0)
	v_cmp_lt_i32_e32 vcc_lo, v17, v19
	s_delay_alu instid0(VALU_DEP_2) | instskip(SKIP_2) | instid1(SALU_CYCLE_1)
	v_dual_cndmask_b32 v7, v7, v18 :: v_dual_cndmask_b32 v8, v8, v20
	v_dual_cndmask_b32 v13, v15, v13 :: v_dual_cndmask_b32 v14, v16, v14
	s_or_b32 exec_lo, exec_lo, s0
	s_mov_b32 s0, exec_lo
	s_delay_alu instid0(VALU_DEP_1)
	v_cmpx_lt_i64_e64 v[7:8], v[13:14]
	s_cbranch_execz .LBB22_11
.LBB22_17:
	v_mad_u64_u32 v[15:16], null, v13, 15, v[7:8]
	s_delay_alu instid0(VALU_DEP_1) | instskip(NEXT) | instid1(VALU_DEP_1)
	v_mad_u64_u32 v[17:18], null, v14, 15, v[16:17]
	v_mov_b32_e32 v16, v17
	s_delay_alu instid0(VALU_DEP_1) | instskip(NEXT) | instid1(VALU_DEP_1)
	v_lshrrev_b64 v[15:16], 4, v[15:16]
	v_lshlrev_b64 v[17:18], 2, v[15:16]
	s_delay_alu instid0(VALU_DEP_1) | instskip(NEXT) | instid1(VALU_DEP_2)
	v_add_co_u32 v17, vcc_lo, s10, v17
	v_add_co_ci_u32_e32 v18, vcc_lo, s11, v18, vcc_lo
	global_load_b32 v17, v[17:18], off
	v_add_co_u32 v18, vcc_lo, v15, 1
	v_add_co_ci_u32_e32 v20, vcc_lo, 0, v16, vcc_lo
	s_waitcnt vmcnt(0)
	v_cmp_lt_i32_e32 vcc_lo, v17, v19
	s_delay_alu instid0(VALU_DEP_2) | instskip(SKIP_2) | instid1(SALU_CYCLE_1)
	v_dual_cndmask_b32 v7, v7, v18 :: v_dual_cndmask_b32 v8, v8, v20
	v_dual_cndmask_b32 v13, v15, v13 :: v_dual_cndmask_b32 v14, v16, v14
	s_or_b32 exec_lo, exec_lo, s0
	s_mov_b32 s0, exec_lo
	s_delay_alu instid0(VALU_DEP_1)
	v_cmpx_lt_i64_e64 v[7:8], v[13:14]
	s_cbranch_execz .LBB22_21
.LBB22_18:
	s_mov_b32 s15, 0
	.p2align	6
.LBB22_19:                              ; =>This Inner Loop Header: Depth=1
	v_add_co_u32 v15, vcc_lo, v7, v13
	v_add_co_ci_u32_e32 v16, vcc_lo, v8, v14, vcc_lo
	s_delay_alu instid0(VALU_DEP_1) | instskip(NEXT) | instid1(VALU_DEP_1)
	v_ashrrev_i64 v[15:16], 1, v[15:16]
	v_lshlrev_b64 v[17:18], 2, v[15:16]
	s_delay_alu instid0(VALU_DEP_1) | instskip(NEXT) | instid1(VALU_DEP_2)
	v_add_co_u32 v17, vcc_lo, s10, v17
	v_add_co_ci_u32_e32 v18, vcc_lo, s11, v18, vcc_lo
	global_load_b32 v17, v[17:18], off
	v_add_co_u32 v18, vcc_lo, v15, 1
	v_add_co_ci_u32_e32 v20, vcc_lo, 0, v16, vcc_lo
	s_waitcnt vmcnt(0)
	v_cmp_lt_i32_e32 vcc_lo, v17, v19
	s_delay_alu instid0(VALU_DEP_2) | instskip(SKIP_1) | instid1(VALU_DEP_1)
	v_dual_cndmask_b32 v8, v8, v20 :: v_dual_cndmask_b32 v7, v7, v18
	v_dual_cndmask_b32 v14, v16, v14 :: v_dual_cndmask_b32 v13, v15, v13
	v_cmp_ge_i64_e32 vcc_lo, v[7:8], v[13:14]
	s_or_b32 s15, vcc_lo, s15
	s_delay_alu instid0(SALU_CYCLE_1)
	s_and_not1_b32 exec_lo, exec_lo, s15
	s_cbranch_execnz .LBB22_19
; %bb.20:
	s_or_b32 exec_lo, exec_lo, s15
.LBB22_21:
	s_delay_alu instid0(SALU_CYCLE_1)
	s_or_b32 exec_lo, exec_lo, s0
	v_dual_mov_b32 v13, 0 :: v_dual_mov_b32 v16, v12
	v_dual_mov_b32 v14, 0 :: v_dual_mov_b32 v15, v11
	s_mov_b32 s0, exec_lo
	v_cmpx_lt_i64_e32 0, v[11:12]
	s_cbranch_execnz .LBB22_26
; %bb.22:
	s_or_b32 exec_lo, exec_lo, s0
	s_delay_alu instid0(SALU_CYCLE_1)
	s_mov_b32 s0, exec_lo
	v_cmpx_lt_i64_e64 v[13:14], v[15:16]
	s_cbranch_execnz .LBB22_27
.LBB22_23:
	s_or_b32 exec_lo, exec_lo, s0
	s_delay_alu instid0(SALU_CYCLE_1)
	s_mov_b32 s0, exec_lo
	v_cmpx_lt_i64_e64 v[13:14], v[15:16]
	s_cbranch_execnz .LBB22_28
.LBB22_24:
	s_or_b32 exec_lo, exec_lo, s0
	s_delay_alu instid0(SALU_CYCLE_1)
	s_mov_b32 s0, exec_lo
	v_cmpx_lt_i64_e64 v[13:14], v[15:16]
	s_cbranch_execnz .LBB22_29
.LBB22_25:
	s_or_b32 exec_lo, exec_lo, s0
	s_delay_alu instid0(SALU_CYCLE_1)
	s_mov_b32 s0, exec_lo
	v_cmpx_lt_i64_e64 v[13:14], v[15:16]
	s_cbranch_execnz .LBB22_30
	s_branch .LBB22_33
.LBB22_26:
	v_mad_u64_u32 v[13:14], null, 0x1ff, v11, 0
	s_delay_alu instid0(VALU_DEP_1) | instskip(NEXT) | instid1(VALU_DEP_1)
	v_mad_u64_u32 v[15:16], null, 0x1ff, v12, v[14:15]
	v_mov_b32_e32 v14, v15
	s_delay_alu instid0(VALU_DEP_1) | instskip(NEXT) | instid1(VALU_DEP_1)
	v_lshrrev_b64 v[15:16], 9, v[13:14]
	v_lshlrev_b64 v[13:14], 2, v[15:16]
	s_delay_alu instid0(VALU_DEP_1) | instskip(NEXT) | instid1(VALU_DEP_2)
	v_add_co_u32 v13, vcc_lo, s2, v13
	v_add_co_ci_u32_e32 v14, vcc_lo, s3, v14, vcc_lo
	v_add_co_u32 v17, vcc_lo, v15, 1
	global_load_b32 v13, v[13:14], off
	v_add_co_ci_u32_e32 v14, vcc_lo, 0, v16, vcc_lo
	s_waitcnt vmcnt(0)
	v_cmp_lt_i32_e32 vcc_lo, v13, v19
	s_delay_alu instid0(VALU_DEP_2) | instskip(SKIP_2) | instid1(SALU_CYCLE_1)
	v_dual_cndmask_b32 v13, 0, v17 :: v_dual_cndmask_b32 v14, 0, v14
	v_dual_cndmask_b32 v15, v15, v11 :: v_dual_cndmask_b32 v16, v16, v12
	s_or_b32 exec_lo, exec_lo, s0
	s_mov_b32 s0, exec_lo
	s_delay_alu instid0(VALU_DEP_1)
	v_cmpx_lt_i64_e64 v[13:14], v[15:16]
	s_cbranch_execz .LBB22_23
.LBB22_27:
	v_mad_u64_u32 v[17:18], null, 0x7f, v15, v[13:14]
	s_waitcnt vmcnt(0)
	s_delay_alu instid0(VALU_DEP_1) | instskip(NEXT) | instid1(VALU_DEP_1)
	v_mad_u64_u32 v[20:21], null, 0x7f, v16, v[18:19]
	v_mov_b32_e32 v18, v20
	s_delay_alu instid0(VALU_DEP_1) | instskip(NEXT) | instid1(VALU_DEP_1)
	v_lshrrev_b64 v[17:18], 7, v[17:18]
	v_lshlrev_b64 v[20:21], 2, v[17:18]
	s_delay_alu instid0(VALU_DEP_1) | instskip(NEXT) | instid1(VALU_DEP_2)
	v_add_co_u32 v20, vcc_lo, s2, v20
	v_add_co_ci_u32_e32 v21, vcc_lo, s3, v21, vcc_lo
	global_load_b32 v20, v[20:21], off
	v_add_co_u32 v21, vcc_lo, v17, 1
	v_add_co_ci_u32_e32 v22, vcc_lo, 0, v18, vcc_lo
	s_waitcnt vmcnt(0)
	v_cmp_lt_i32_e32 vcc_lo, v20, v19
	s_delay_alu instid0(VALU_DEP_2) | instskip(SKIP_2) | instid1(SALU_CYCLE_1)
	v_dual_cndmask_b32 v13, v13, v21 :: v_dual_cndmask_b32 v14, v14, v22
	v_dual_cndmask_b32 v15, v17, v15 :: v_dual_cndmask_b32 v16, v18, v16
	s_or_b32 exec_lo, exec_lo, s0
	s_mov_b32 s0, exec_lo
	s_delay_alu instid0(VALU_DEP_1)
	v_cmpx_lt_i64_e64 v[13:14], v[15:16]
	s_cbranch_execz .LBB22_24
.LBB22_28:
	v_mad_u64_u32 v[17:18], null, v15, 31, v[13:14]
	s_waitcnt vmcnt(0)
	s_delay_alu instid0(VALU_DEP_1) | instskip(NEXT) | instid1(VALU_DEP_1)
	v_mad_u64_u32 v[20:21], null, v16, 31, v[18:19]
	v_mov_b32_e32 v18, v20
	s_delay_alu instid0(VALU_DEP_1) | instskip(NEXT) | instid1(VALU_DEP_1)
	v_lshrrev_b64 v[17:18], 5, v[17:18]
	v_lshlrev_b64 v[20:21], 2, v[17:18]
	s_delay_alu instid0(VALU_DEP_1) | instskip(NEXT) | instid1(VALU_DEP_2)
	v_add_co_u32 v20, vcc_lo, s2, v20
	v_add_co_ci_u32_e32 v21, vcc_lo, s3, v21, vcc_lo
	global_load_b32 v20, v[20:21], off
	v_add_co_u32 v21, vcc_lo, v17, 1
	v_add_co_ci_u32_e32 v22, vcc_lo, 0, v18, vcc_lo
	s_waitcnt vmcnt(0)
	v_cmp_lt_i32_e32 vcc_lo, v20, v19
	s_delay_alu instid0(VALU_DEP_2) | instskip(SKIP_2) | instid1(SALU_CYCLE_1)
	v_dual_cndmask_b32 v13, v13, v21 :: v_dual_cndmask_b32 v14, v14, v22
	v_dual_cndmask_b32 v15, v17, v15 :: v_dual_cndmask_b32 v16, v18, v16
	s_or_b32 exec_lo, exec_lo, s0
	s_mov_b32 s0, exec_lo
	s_delay_alu instid0(VALU_DEP_1)
	v_cmpx_lt_i64_e64 v[13:14], v[15:16]
	s_cbranch_execz .LBB22_25
.LBB22_29:
	v_mad_u64_u32 v[17:18], null, v15, 15, v[13:14]
	s_waitcnt vmcnt(0)
	s_delay_alu instid0(VALU_DEP_1) | instskip(NEXT) | instid1(VALU_DEP_1)
	v_mad_u64_u32 v[20:21], null, v16, 15, v[18:19]
	v_mov_b32_e32 v18, v20
	s_delay_alu instid0(VALU_DEP_1) | instskip(NEXT) | instid1(VALU_DEP_1)
	v_lshrrev_b64 v[17:18], 4, v[17:18]
	v_lshlrev_b64 v[20:21], 2, v[17:18]
	s_delay_alu instid0(VALU_DEP_1) | instskip(NEXT) | instid1(VALU_DEP_2)
	v_add_co_u32 v20, vcc_lo, s2, v20
	v_add_co_ci_u32_e32 v21, vcc_lo, s3, v21, vcc_lo
	global_load_b32 v20, v[20:21], off
	v_add_co_u32 v21, vcc_lo, v17, 1
	v_add_co_ci_u32_e32 v22, vcc_lo, 0, v18, vcc_lo
	s_waitcnt vmcnt(0)
	v_cmp_lt_i32_e32 vcc_lo, v20, v19
	s_delay_alu instid0(VALU_DEP_2) | instskip(SKIP_2) | instid1(SALU_CYCLE_1)
	v_dual_cndmask_b32 v13, v13, v21 :: v_dual_cndmask_b32 v14, v14, v22
	v_dual_cndmask_b32 v15, v17, v15 :: v_dual_cndmask_b32 v16, v18, v16
	s_or_b32 exec_lo, exec_lo, s0
	s_mov_b32 s0, exec_lo
	s_delay_alu instid0(VALU_DEP_1)
	v_cmpx_lt_i64_e64 v[13:14], v[15:16]
	s_cbranch_execz .LBB22_33
.LBB22_30:
	s_mov_b32 s15, 0
	.p2align	6
.LBB22_31:                              ; =>This Inner Loop Header: Depth=1
	v_add_co_u32 v17, vcc_lo, v13, v15
	v_add_co_ci_u32_e32 v18, vcc_lo, v14, v16, vcc_lo
	s_delay_alu instid0(VALU_DEP_1) | instskip(NEXT) | instid1(VALU_DEP_1)
	v_ashrrev_i64 v[17:18], 1, v[17:18]
	v_lshlrev_b64 v[20:21], 2, v[17:18]
	s_delay_alu instid0(VALU_DEP_1) | instskip(NEXT) | instid1(VALU_DEP_2)
	v_add_co_u32 v20, vcc_lo, s2, v20
	v_add_co_ci_u32_e32 v21, vcc_lo, s3, v21, vcc_lo
	global_load_b32 v20, v[20:21], off
	v_add_co_u32 v21, vcc_lo, v17, 1
	v_add_co_ci_u32_e32 v22, vcc_lo, 0, v18, vcc_lo
	s_waitcnt vmcnt(0)
	v_cmp_lt_i32_e32 vcc_lo, v20, v19
	s_delay_alu instid0(VALU_DEP_2) | instskip(SKIP_1) | instid1(VALU_DEP_1)
	v_dual_cndmask_b32 v14, v14, v22 :: v_dual_cndmask_b32 v13, v13, v21
	v_dual_cndmask_b32 v16, v18, v16 :: v_dual_cndmask_b32 v15, v17, v15
	v_cmp_ge_i64_e32 vcc_lo, v[13:14], v[15:16]
	s_or_b32 s15, vcc_lo, s15
	s_delay_alu instid0(SALU_CYCLE_1)
	s_and_not1_b32 exec_lo, exec_lo, s15
	s_cbranch_execnz .LBB22_31
; %bb.32:
	s_or_b32 exec_lo, exec_lo, s15
.LBB22_33:
	s_delay_alu instid0(SALU_CYCLE_1)
	s_or_b32 exec_lo, exec_lo, s0
	v_sub_co_u32 v1, vcc_lo, v1, v7
	v_sub_co_ci_u32_e32 v2, vcc_lo, v2, v8, vcc_lo
	v_sub_co_u32 v17, vcc_lo, v11, v13
	v_sub_co_ci_u32_e32 v18, vcc_lo, v12, v14, vcc_lo
	s_mov_b32 s0, exec_lo
	s_delay_alu instid0(VALU_DEP_2) | instskip(NEXT) | instid1(VALU_DEP_2)
	v_add_co_u32 v15, vcc_lo, v17, v1
	v_add_co_ci_u32_e32 v16, vcc_lo, v18, v2, vcc_lo
	s_delay_alu instid0(VALU_DEP_1) | instskip(NEXT) | instid1(VALU_DEP_1)
	v_ashrrev_i64 v[1:2], 1, v[15:16]
	v_cmp_gt_i64_e32 vcc_lo, v[1:2], v[17:18]
	v_dual_cndmask_b32 v2, v18, v2 :: v_dual_cndmask_b32 v1, v17, v1
	s_delay_alu instid0(VALU_DEP_1) | instskip(NEXT) | instid1(VALU_DEP_2)
	v_add_co_u32 v13, vcc_lo, v13, v1
	v_add_co_ci_u32_e32 v14, vcc_lo, v14, v2, vcc_lo
	s_delay_alu instid0(VALU_DEP_2) | instskip(NEXT) | instid1(VALU_DEP_2)
	v_add_co_u32 v13, vcc_lo, v13, 1
	v_add_co_ci_u32_e32 v14, vcc_lo, 0, v14, vcc_lo
	s_delay_alu instid0(VALU_DEP_1) | instskip(SKIP_2) | instid1(VALU_DEP_2)
	v_cmp_gt_i64_e32 vcc_lo, s[6:7], v[13:14]
	v_cndmask_b32_e32 v13, s6, v13, vcc_lo
	v_cndmask_b32_e32 v14, s7, v14, vcc_lo
	v_sub_co_u32 v13, vcc_lo, v13, v11
	s_delay_alu instid0(VALU_DEP_2) | instskip(SKIP_2) | instid1(VALU_DEP_3)
	v_sub_co_ci_u32_e32 v14, vcc_lo, v14, v12, vcc_lo
	v_mov_b32_e32 v11, 0
	v_mov_b32_e32 v12, 0
	v_cmpx_lt_i64_e32 0, v[13:14]
	s_cbranch_execz .LBB22_37
; %bb.34:
	v_mov_b32_e32 v11, 0
	v_mov_b32_e32 v12, 0
	s_mov_b32 s15, 0
	.p2align	6
.LBB22_35:                              ; =>This Inner Loop Header: Depth=1
	s_delay_alu instid0(VALU_DEP_2) | instskip(NEXT) | instid1(VALU_DEP_2)
	v_add_co_u32 v20, vcc_lo, v11, v13
	v_add_co_ci_u32_e32 v21, vcc_lo, v12, v14, vcc_lo
	s_delay_alu instid0(VALU_DEP_1) | instskip(NEXT) | instid1(VALU_DEP_1)
	v_ashrrev_i64 v[20:21], 1, v[20:21]
	v_lshlrev_b64 v[22:23], 2, v[20:21]
	s_delay_alu instid0(VALU_DEP_1) | instskip(NEXT) | instid1(VALU_DEP_2)
	v_add_co_u32 v22, vcc_lo, v9, v22
	v_add_co_ci_u32_e32 v23, vcc_lo, v10, v23, vcc_lo
	global_load_b32 v22, v[22:23], off
	v_add_co_u32 v23, vcc_lo, v20, 1
	v_add_co_ci_u32_e32 v24, vcc_lo, 0, v21, vcc_lo
	s_waitcnt vmcnt(0)
	v_cmp_gt_i32_e32 vcc_lo, v22, v19
	s_delay_alu instid0(VALU_DEP_2) | instskip(SKIP_1) | instid1(VALU_DEP_1)
	v_dual_cndmask_b32 v12, v24, v12 :: v_dual_cndmask_b32 v11, v23, v11
	v_dual_cndmask_b32 v14, v14, v21 :: v_dual_cndmask_b32 v13, v13, v20
	v_cmp_ge_i64_e32 vcc_lo, v[11:12], v[13:14]
	s_or_b32 s15, vcc_lo, s15
	s_delay_alu instid0(SALU_CYCLE_1)
	s_and_not1_b32 exec_lo, exec_lo, s15
	s_cbranch_execnz .LBB22_35
; %bb.36:
	s_or_b32 exec_lo, exec_lo, s15
	v_ashrrev_i32_e32 v12, 31, v11
.LBB22_37:
	s_or_b32 exec_lo, exec_lo, s0
	v_add_co_u32 v9, vcc_lo, v11, v17
	s_delay_alu instid0(VALU_DEP_2) | instskip(SKIP_1) | instid1(VALU_DEP_1)
	v_add_co_ci_u32_e32 v10, vcc_lo, v12, v18, vcc_lo
	s_mov_b32 s15, 0
	v_cmp_lt_i64_e32 vcc_lo, v[9:10], v[1:2]
	v_dual_cndmask_b32 v14, v2, v10 :: v_dual_cndmask_b32 v13, v1, v9
	s_delay_alu instid0(VALU_DEP_1) | instskip(NEXT) | instid1(VALU_DEP_2)
	v_sub_co_u32 v11, vcc_lo, v15, v13
	v_sub_co_ci_u32_e32 v12, vcc_lo, v16, v14, vcc_lo
	v_add_co_u32 v13, vcc_lo, v13, 1
	v_add_co_ci_u32_e32 v14, vcc_lo, 0, v14, vcc_lo
	v_cmp_lt_i64_e32 vcc_lo, v[1:2], v[9:10]
	v_mov_b32_e32 v10, s15
	s_delay_alu instid0(VALU_DEP_3) | instskip(NEXT) | instid1(VALU_DEP_1)
	v_cmp_eq_u64_e64 s0, v[11:12], v[13:14]
	s_and_b32 s0, s0, vcc_lo
	v_add_co_u32 v1, vcc_lo, v11, v7
	v_cndmask_b32_e64 v9, 0, 1, s0
	v_add_co_ci_u32_e32 v2, vcc_lo, v12, v8, vcc_lo
.LBB22_38:
	s_or_b32 exec_lo, exec_lo, s14
	s_delay_alu instid0(VALU_DEP_2) | instskip(SKIP_2) | instid1(VALU_DEP_2)
	v_add_co_u32 v3, vcc_lo, v9, v3
	v_add_co_ci_u32_e32 v4, vcc_lo, v10, v4, vcc_lo
	s_mov_b32 s0, exec_lo
	v_sub_co_u32 v3, vcc_lo, v3, v1
	s_delay_alu instid0(VALU_DEP_2) | instskip(SKIP_1) | instid1(SALU_CYCLE_1)
	v_sub_co_ci_u32_e32 v4, vcc_lo, v4, v2, vcc_lo
	s_or_b32 exec_lo, exec_lo, s13
	s_and_b32 vcc_lo, exec_lo, s12
	s_cbranch_vccz .LBB22_74
.LBB22_39:
	v_add_nc_u32_e32 v5, s1, v0
	s_add_u32 s0, s6, s4
	s_addc_u32 s1, s7, s5
	v_mov_b32_e32 v6, 0
	s_delay_alu instid0(VALU_DEP_2) | instskip(NEXT) | instid1(VALU_DEP_1)
	v_mad_u64_u32 v[0:1], null, 0xfff, v5, 0
	v_cmp_lt_i64_e32 vcc_lo, s[0:1], v[0:1]
	v_cndmask_b32_e64 v3, v0, s0, vcc_lo
	v_cndmask_b32_e64 v4, v1, s1, vcc_lo
	s_mov_b32 s1, 0
	s_delay_alu instid0(VALU_DEP_2) | instskip(NEXT) | instid1(VALU_DEP_2)
	v_sub_co_u32 v0, vcc_lo, v3, s6
	v_subrev_co_ci_u32_e32 v1, vcc_lo, s7, v4, vcc_lo
	v_cmp_lt_i64_e64 s0, s[4:5], v[3:4]
	s_delay_alu instid0(VALU_DEP_2) | instskip(NEXT) | instid1(VALU_DEP_2)
	v_cmp_lt_i64_e32 vcc_lo, 0, v[0:1]
	v_cndmask_b32_e64 v8, v4, s5, s0
	v_cndmask_b32_e64 v7, v3, s4, s0
	s_mov_b32 s0, exec_lo
	v_dual_cndmask_b32 v2, 0, v1 :: v_dual_cndmask_b32 v1, 0, v0
	s_delay_alu instid0(VALU_DEP_1)
	v_cmpx_lt_i64_e64 v[1:2], v[7:8]
	s_cbranch_execz .LBB22_43
; %bb.40:
	v_lshlrev_b64 v[9:10], 2, v[3:4]
	s_delay_alu instid0(VALU_DEP_1) | instskip(NEXT) | instid1(VALU_DEP_2)
	v_add_co_u32 v0, vcc_lo, s2, v9
	v_add_co_ci_u32_e32 v9, vcc_lo, s3, v10, vcc_lo
	s_set_inst_prefetch_distance 0x1
	.p2align	6
.LBB22_41:                              ; =>This Inner Loop Header: Depth=1
	v_add_co_u32 v10, vcc_lo, v7, v1
	v_add_co_ci_u32_e32 v11, vcc_lo, v8, v2, vcc_lo
	s_delay_alu instid0(VALU_DEP_1) | instskip(NEXT) | instid1(VALU_DEP_1)
	v_ashrrev_i64 v[10:11], 1, v[10:11]
	v_not_b32_e32 v13, v11
	s_delay_alu instid0(VALU_DEP_2) | instskip(SKIP_1) | instid1(VALU_DEP_2)
	v_not_b32_e32 v12, v10
	v_lshlrev_b64 v[14:15], 2, v[10:11]
	v_lshlrev_b64 v[12:13], 2, v[12:13]
	s_delay_alu instid0(VALU_DEP_2) | instskip(NEXT) | instid1(VALU_DEP_3)
	v_add_co_u32 v14, vcc_lo, s10, v14
	v_add_co_ci_u32_e32 v15, vcc_lo, s11, v15, vcc_lo
	s_delay_alu instid0(VALU_DEP_3) | instskip(NEXT) | instid1(VALU_DEP_4)
	v_add_co_u32 v12, vcc_lo, v0, v12
	v_add_co_ci_u32_e32 v13, vcc_lo, v9, v13, vcc_lo
	global_load_b32 v14, v[14:15], off
	global_load_b32 v12, v[12:13], off
	v_add_co_u32 v13, vcc_lo, v10, 1
	v_add_co_ci_u32_e32 v15, vcc_lo, 0, v11, vcc_lo
	s_waitcnt vmcnt(0)
	v_cmp_lt_i32_e32 vcc_lo, v12, v14
	v_dual_cndmask_b32 v8, v8, v11 :: v_dual_cndmask_b32 v7, v7, v10
	s_delay_alu instid0(VALU_DEP_3) | instskip(NEXT) | instid1(VALU_DEP_1)
	v_dual_cndmask_b32 v2, v15, v2 :: v_dual_cndmask_b32 v1, v13, v1
	v_cmp_ge_i64_e32 vcc_lo, v[1:2], v[7:8]
	s_or_b32 s1, vcc_lo, s1
	s_delay_alu instid0(SALU_CYCLE_1)
	s_and_not1_b32 exec_lo, exec_lo, s1
	s_cbranch_execnz .LBB22_41
; %bb.42:
	s_set_inst_prefetch_distance 0x2
	s_or_b32 exec_lo, exec_lo, s1
.LBB22_43:
	s_delay_alu instid0(SALU_CYCLE_1)
	s_or_b32 exec_lo, exec_lo, s0
	v_sub_co_u32 v11, vcc_lo, v3, v1
	v_mov_b32_e32 v9, 0
	v_sub_co_ci_u32_e32 v12, vcc_lo, v4, v2, vcc_lo
	v_mov_b32_e32 v10, 0
	s_mov_b32 s1, exec_lo
	s_delay_alu instid0(VALU_DEP_2)
	v_cmpx_gt_i64_e64 s[6:7], v[11:12]
	s_cbranch_execz .LBB22_73
; %bb.44:
	v_lshlrev_b64 v[7:8], 2, v[11:12]
	s_mov_b32 s0, exec_lo
	v_dual_mov_b32 v14, v2 :: v_dual_mov_b32 v13, v1
	s_delay_alu instid0(VALU_DEP_2) | instskip(NEXT) | instid1(VALU_DEP_3)
	v_add_co_u32 v9, vcc_lo, s2, v7
	v_add_co_ci_u32_e32 v10, vcc_lo, s3, v8, vcc_lo
	v_mov_b32_e32 v7, 0
	v_mov_b32_e32 v8, 0
	global_load_b32 v19, v[9:10], off
	v_cmpx_lt_i64_e32 0, v[1:2]
	s_cbranch_execnz .LBB22_49
; %bb.45:
	s_or_b32 exec_lo, exec_lo, s0
	s_delay_alu instid0(SALU_CYCLE_1)
	s_mov_b32 s0, exec_lo
	v_cmpx_lt_i64_e64 v[7:8], v[13:14]
	s_cbranch_execnz .LBB22_50
.LBB22_46:
	s_or_b32 exec_lo, exec_lo, s0
	s_delay_alu instid0(SALU_CYCLE_1)
	s_mov_b32 s0, exec_lo
	v_cmpx_lt_i64_e64 v[7:8], v[13:14]
	s_cbranch_execnz .LBB22_51
.LBB22_47:
	s_or_b32 exec_lo, exec_lo, s0
	s_delay_alu instid0(SALU_CYCLE_1)
	s_mov_b32 s0, exec_lo
	v_cmpx_lt_i64_e64 v[7:8], v[13:14]
	s_cbranch_execnz .LBB22_52
.LBB22_48:
	s_or_b32 exec_lo, exec_lo, s0
	s_delay_alu instid0(SALU_CYCLE_1)
	s_mov_b32 s0, exec_lo
	v_cmpx_lt_i64_e64 v[7:8], v[13:14]
	s_cbranch_execnz .LBB22_53
	s_branch .LBB22_56
.LBB22_49:
	v_mad_u64_u32 v[7:8], null, 0x1ff, v1, 0
	s_delay_alu instid0(VALU_DEP_1) | instskip(NEXT) | instid1(VALU_DEP_1)
	v_mov_b32_e32 v0, v8
	v_mad_u64_u32 v[13:14], null, 0x1ff, v2, v[0:1]
	s_delay_alu instid0(VALU_DEP_1) | instskip(NEXT) | instid1(VALU_DEP_1)
	v_mov_b32_e32 v8, v13
	v_lshrrev_b64 v[13:14], 9, v[7:8]
	s_delay_alu instid0(VALU_DEP_1) | instskip(NEXT) | instid1(VALU_DEP_1)
	v_lshlrev_b64 v[7:8], 2, v[13:14]
	v_add_co_u32 v7, vcc_lo, s10, v7
	s_delay_alu instid0(VALU_DEP_2)
	v_add_co_ci_u32_e32 v8, vcc_lo, s11, v8, vcc_lo
	global_load_b32 v0, v[7:8], off
	v_add_co_u32 v7, vcc_lo, v13, 1
	v_add_co_ci_u32_e32 v8, vcc_lo, 0, v14, vcc_lo
	s_waitcnt vmcnt(0)
	v_cmp_lt_i32_e32 vcc_lo, v0, v19
	s_delay_alu instid0(VALU_DEP_2) | instskip(SKIP_2) | instid1(SALU_CYCLE_1)
	v_dual_cndmask_b32 v7, 0, v7 :: v_dual_cndmask_b32 v8, 0, v8
	v_dual_cndmask_b32 v13, v13, v1 :: v_dual_cndmask_b32 v14, v14, v2
	s_or_b32 exec_lo, exec_lo, s0
	s_mov_b32 s0, exec_lo
	s_delay_alu instid0(VALU_DEP_1)
	v_cmpx_lt_i64_e64 v[7:8], v[13:14]
	s_cbranch_execz .LBB22_46
.LBB22_50:
	v_mad_u64_u32 v[15:16], null, 0x7f, v13, v[7:8]
	s_delay_alu instid0(VALU_DEP_1) | instskip(NEXT) | instid1(VALU_DEP_1)
	v_mov_b32_e32 v0, v16
	v_mad_u64_u32 v[16:17], null, 0x7f, v14, v[0:1]
	s_delay_alu instid0(VALU_DEP_1) | instskip(NEXT) | instid1(VALU_DEP_1)
	v_lshrrev_b64 v[15:16], 7, v[15:16]
	v_lshlrev_b64 v[17:18], 2, v[15:16]
	s_delay_alu instid0(VALU_DEP_1) | instskip(NEXT) | instid1(VALU_DEP_2)
	v_add_co_u32 v17, vcc_lo, s10, v17
	v_add_co_ci_u32_e32 v18, vcc_lo, s11, v18, vcc_lo
	global_load_b32 v0, v[17:18], off
	v_add_co_u32 v17, vcc_lo, v15, 1
	v_add_co_ci_u32_e32 v18, vcc_lo, 0, v16, vcc_lo
	s_waitcnt vmcnt(0)
	v_cmp_lt_i32_e32 vcc_lo, v0, v19
	s_delay_alu instid0(VALU_DEP_2) | instskip(SKIP_2) | instid1(SALU_CYCLE_1)
	v_dual_cndmask_b32 v7, v7, v17 :: v_dual_cndmask_b32 v8, v8, v18
	v_dual_cndmask_b32 v13, v15, v13 :: v_dual_cndmask_b32 v14, v16, v14
	s_or_b32 exec_lo, exec_lo, s0
	s_mov_b32 s0, exec_lo
	s_delay_alu instid0(VALU_DEP_1)
	v_cmpx_lt_i64_e64 v[7:8], v[13:14]
	s_cbranch_execz .LBB22_47
.LBB22_51:
	v_mad_u64_u32 v[15:16], null, v13, 31, v[7:8]
	s_delay_alu instid0(VALU_DEP_1) | instskip(NEXT) | instid1(VALU_DEP_1)
	v_mov_b32_e32 v0, v16
	v_mad_u64_u32 v[16:17], null, v14, 31, v[0:1]
	s_delay_alu instid0(VALU_DEP_1) | instskip(NEXT) | instid1(VALU_DEP_1)
	v_lshrrev_b64 v[15:16], 5, v[15:16]
	v_lshlrev_b64 v[17:18], 2, v[15:16]
	s_delay_alu instid0(VALU_DEP_1) | instskip(NEXT) | instid1(VALU_DEP_2)
	v_add_co_u32 v17, vcc_lo, s10, v17
	v_add_co_ci_u32_e32 v18, vcc_lo, s11, v18, vcc_lo
	global_load_b32 v0, v[17:18], off
	v_add_co_u32 v17, vcc_lo, v15, 1
	v_add_co_ci_u32_e32 v18, vcc_lo, 0, v16, vcc_lo
	s_waitcnt vmcnt(0)
	v_cmp_lt_i32_e32 vcc_lo, v0, v19
	s_delay_alu instid0(VALU_DEP_2) | instskip(SKIP_2) | instid1(SALU_CYCLE_1)
	v_dual_cndmask_b32 v7, v7, v17 :: v_dual_cndmask_b32 v8, v8, v18
	v_dual_cndmask_b32 v13, v15, v13 :: v_dual_cndmask_b32 v14, v16, v14
	s_or_b32 exec_lo, exec_lo, s0
	s_mov_b32 s0, exec_lo
	s_delay_alu instid0(VALU_DEP_1)
	v_cmpx_lt_i64_e64 v[7:8], v[13:14]
	s_cbranch_execz .LBB22_48
.LBB22_52:
	v_mad_u64_u32 v[15:16], null, v13, 15, v[7:8]
	s_delay_alu instid0(VALU_DEP_1) | instskip(NEXT) | instid1(VALU_DEP_1)
	v_mov_b32_e32 v0, v16
	v_mad_u64_u32 v[16:17], null, v14, 15, v[0:1]
	s_delay_alu instid0(VALU_DEP_1) | instskip(NEXT) | instid1(VALU_DEP_1)
	v_lshrrev_b64 v[15:16], 4, v[15:16]
	v_lshlrev_b64 v[17:18], 2, v[15:16]
	s_delay_alu instid0(VALU_DEP_1) | instskip(NEXT) | instid1(VALU_DEP_2)
	v_add_co_u32 v17, vcc_lo, s10, v17
	v_add_co_ci_u32_e32 v18, vcc_lo, s11, v18, vcc_lo
	global_load_b32 v0, v[17:18], off
	v_add_co_u32 v17, vcc_lo, v15, 1
	v_add_co_ci_u32_e32 v18, vcc_lo, 0, v16, vcc_lo
	s_waitcnt vmcnt(0)
	v_cmp_lt_i32_e32 vcc_lo, v0, v19
	s_delay_alu instid0(VALU_DEP_2) | instskip(SKIP_2) | instid1(SALU_CYCLE_1)
	v_dual_cndmask_b32 v7, v7, v17 :: v_dual_cndmask_b32 v8, v8, v18
	v_dual_cndmask_b32 v13, v15, v13 :: v_dual_cndmask_b32 v14, v16, v14
	s_or_b32 exec_lo, exec_lo, s0
	s_mov_b32 s0, exec_lo
	s_delay_alu instid0(VALU_DEP_1)
	v_cmpx_lt_i64_e64 v[7:8], v[13:14]
	s_cbranch_execz .LBB22_56
.LBB22_53:
	s_mov_b32 s4, 0
	.p2align	6
.LBB22_54:                              ; =>This Inner Loop Header: Depth=1
	v_add_co_u32 v15, vcc_lo, v7, v13
	v_add_co_ci_u32_e32 v16, vcc_lo, v8, v14, vcc_lo
	s_delay_alu instid0(VALU_DEP_1) | instskip(NEXT) | instid1(VALU_DEP_1)
	v_ashrrev_i64 v[15:16], 1, v[15:16]
	v_lshlrev_b64 v[17:18], 2, v[15:16]
	s_delay_alu instid0(VALU_DEP_1) | instskip(NEXT) | instid1(VALU_DEP_2)
	v_add_co_u32 v17, vcc_lo, s10, v17
	v_add_co_ci_u32_e32 v18, vcc_lo, s11, v18, vcc_lo
	global_load_b32 v0, v[17:18], off
	v_add_co_u32 v17, vcc_lo, v15, 1
	v_add_co_ci_u32_e32 v18, vcc_lo, 0, v16, vcc_lo
	s_waitcnt vmcnt(0)
	v_cmp_lt_i32_e32 vcc_lo, v0, v19
	s_delay_alu instid0(VALU_DEP_2) | instskip(SKIP_1) | instid1(VALU_DEP_1)
	v_dual_cndmask_b32 v8, v8, v18 :: v_dual_cndmask_b32 v7, v7, v17
	v_dual_cndmask_b32 v14, v16, v14 :: v_dual_cndmask_b32 v13, v15, v13
	v_cmp_ge_i64_e32 vcc_lo, v[7:8], v[13:14]
	s_or_b32 s4, vcc_lo, s4
	s_delay_alu instid0(SALU_CYCLE_1)
	s_and_not1_b32 exec_lo, exec_lo, s4
	s_cbranch_execnz .LBB22_54
; %bb.55:
	s_or_b32 exec_lo, exec_lo, s4
.LBB22_56:
	s_delay_alu instid0(SALU_CYCLE_1)
	s_or_b32 exec_lo, exec_lo, s0
	v_dual_mov_b32 v13, 0 :: v_dual_mov_b32 v16, v12
	v_dual_mov_b32 v14, 0 :: v_dual_mov_b32 v15, v11
	s_mov_b32 s0, exec_lo
	v_cmpx_lt_i64_e32 0, v[11:12]
	s_cbranch_execnz .LBB22_61
; %bb.57:
	s_or_b32 exec_lo, exec_lo, s0
	s_delay_alu instid0(SALU_CYCLE_1)
	s_mov_b32 s0, exec_lo
	v_cmpx_lt_i64_e64 v[13:14], v[15:16]
	s_cbranch_execnz .LBB22_62
.LBB22_58:
	s_or_b32 exec_lo, exec_lo, s0
	s_delay_alu instid0(SALU_CYCLE_1)
	s_mov_b32 s0, exec_lo
	v_cmpx_lt_i64_e64 v[13:14], v[15:16]
	s_cbranch_execnz .LBB22_63
.LBB22_59:
	s_or_b32 exec_lo, exec_lo, s0
	s_delay_alu instid0(SALU_CYCLE_1)
	s_mov_b32 s0, exec_lo
	v_cmpx_lt_i64_e64 v[13:14], v[15:16]
	s_cbranch_execnz .LBB22_64
.LBB22_60:
	s_or_b32 exec_lo, exec_lo, s0
	s_delay_alu instid0(SALU_CYCLE_1)
	s_mov_b32 s0, exec_lo
	v_cmpx_lt_i64_e64 v[13:14], v[15:16]
	s_cbranch_execnz .LBB22_65
	s_branch .LBB22_68
.LBB22_61:
	v_mad_u64_u32 v[13:14], null, 0x1ff, v11, 0
	s_delay_alu instid0(VALU_DEP_1) | instskip(NEXT) | instid1(VALU_DEP_1)
	v_mov_b32_e32 v0, v14
	v_mad_u64_u32 v[14:15], null, 0x1ff, v12, v[0:1]
	s_delay_alu instid0(VALU_DEP_1) | instskip(NEXT) | instid1(VALU_DEP_1)
	v_lshrrev_b64 v[15:16], 9, v[13:14]
	v_lshlrev_b64 v[13:14], 2, v[15:16]
	s_delay_alu instid0(VALU_DEP_1) | instskip(NEXT) | instid1(VALU_DEP_2)
	v_add_co_u32 v13, vcc_lo, s2, v13
	v_add_co_ci_u32_e32 v14, vcc_lo, s3, v14, vcc_lo
	global_load_b32 v0, v[13:14], off
	v_add_co_u32 v13, vcc_lo, v15, 1
	v_add_co_ci_u32_e32 v14, vcc_lo, 0, v16, vcc_lo
	s_waitcnt vmcnt(0)
	v_cmp_lt_i32_e32 vcc_lo, v0, v19
	s_delay_alu instid0(VALU_DEP_2) | instskip(SKIP_2) | instid1(SALU_CYCLE_1)
	v_dual_cndmask_b32 v13, 0, v13 :: v_dual_cndmask_b32 v14, 0, v14
	v_dual_cndmask_b32 v15, v15, v11 :: v_dual_cndmask_b32 v16, v16, v12
	s_or_b32 exec_lo, exec_lo, s0
	s_mov_b32 s0, exec_lo
	s_delay_alu instid0(VALU_DEP_1)
	v_cmpx_lt_i64_e64 v[13:14], v[15:16]
	s_cbranch_execz .LBB22_58
.LBB22_62:
	v_mad_u64_u32 v[17:18], null, 0x7f, v15, v[13:14]
	s_delay_alu instid0(VALU_DEP_1) | instskip(NEXT) | instid1(VALU_DEP_1)
	v_mov_b32_e32 v0, v18
	v_mad_u64_u32 v[20:21], null, 0x7f, v16, v[0:1]
	s_delay_alu instid0(VALU_DEP_1) | instskip(NEXT) | instid1(VALU_DEP_1)
	v_mov_b32_e32 v18, v20
	v_lshrrev_b64 v[17:18], 7, v[17:18]
	s_delay_alu instid0(VALU_DEP_1) | instskip(NEXT) | instid1(VALU_DEP_1)
	v_lshlrev_b64 v[20:21], 2, v[17:18]
	v_add_co_u32 v20, vcc_lo, s2, v20
	s_delay_alu instid0(VALU_DEP_2)
	v_add_co_ci_u32_e32 v21, vcc_lo, s3, v21, vcc_lo
	global_load_b32 v0, v[20:21], off
	v_add_co_u32 v20, vcc_lo, v17, 1
	v_add_co_ci_u32_e32 v21, vcc_lo, 0, v18, vcc_lo
	s_waitcnt vmcnt(0)
	v_cmp_lt_i32_e32 vcc_lo, v0, v19
	s_delay_alu instid0(VALU_DEP_2) | instskip(SKIP_3) | instid1(SALU_CYCLE_1)
	v_dual_cndmask_b32 v15, v17, v15 :: v_dual_cndmask_b32 v14, v14, v21
	v_cndmask_b32_e32 v13, v13, v20, vcc_lo
	v_cndmask_b32_e32 v16, v18, v16, vcc_lo
	s_or_b32 exec_lo, exec_lo, s0
	s_mov_b32 s0, exec_lo
	s_delay_alu instid0(VALU_DEP_1)
	v_cmpx_lt_i64_e64 v[13:14], v[15:16]
	s_cbranch_execz .LBB22_59
.LBB22_63:
	v_mad_u64_u32 v[17:18], null, v15, 31, v[13:14]
	s_delay_alu instid0(VALU_DEP_1) | instskip(NEXT) | instid1(VALU_DEP_1)
	v_mov_b32_e32 v0, v18
	v_mad_u64_u32 v[20:21], null, v16, 31, v[0:1]
	s_delay_alu instid0(VALU_DEP_1) | instskip(NEXT) | instid1(VALU_DEP_1)
	v_mov_b32_e32 v18, v20
	v_lshrrev_b64 v[17:18], 5, v[17:18]
	s_delay_alu instid0(VALU_DEP_1) | instskip(NEXT) | instid1(VALU_DEP_1)
	v_lshlrev_b64 v[20:21], 2, v[17:18]
	v_add_co_u32 v20, vcc_lo, s2, v20
	s_delay_alu instid0(VALU_DEP_2)
	v_add_co_ci_u32_e32 v21, vcc_lo, s3, v21, vcc_lo
	global_load_b32 v0, v[20:21], off
	v_add_co_u32 v20, vcc_lo, v17, 1
	v_add_co_ci_u32_e32 v21, vcc_lo, 0, v18, vcc_lo
	s_waitcnt vmcnt(0)
	v_cmp_lt_i32_e32 vcc_lo, v0, v19
	s_delay_alu instid0(VALU_DEP_2) | instskip(SKIP_3) | instid1(SALU_CYCLE_1)
	v_dual_cndmask_b32 v15, v17, v15 :: v_dual_cndmask_b32 v14, v14, v21
	v_cndmask_b32_e32 v13, v13, v20, vcc_lo
	v_cndmask_b32_e32 v16, v18, v16, vcc_lo
	s_or_b32 exec_lo, exec_lo, s0
	s_mov_b32 s0, exec_lo
	s_delay_alu instid0(VALU_DEP_1)
	v_cmpx_lt_i64_e64 v[13:14], v[15:16]
	s_cbranch_execz .LBB22_60
.LBB22_64:
	v_mad_u64_u32 v[17:18], null, v15, 15, v[13:14]
	s_delay_alu instid0(VALU_DEP_1) | instskip(NEXT) | instid1(VALU_DEP_1)
	v_mov_b32_e32 v0, v18
	v_mad_u64_u32 v[20:21], null, v16, 15, v[0:1]
	s_delay_alu instid0(VALU_DEP_1) | instskip(NEXT) | instid1(VALU_DEP_1)
	v_mov_b32_e32 v18, v20
	v_lshrrev_b64 v[17:18], 4, v[17:18]
	s_delay_alu instid0(VALU_DEP_1) | instskip(NEXT) | instid1(VALU_DEP_1)
	v_lshlrev_b64 v[20:21], 2, v[17:18]
	v_add_co_u32 v20, vcc_lo, s2, v20
	s_delay_alu instid0(VALU_DEP_2)
	v_add_co_ci_u32_e32 v21, vcc_lo, s3, v21, vcc_lo
	global_load_b32 v0, v[20:21], off
	v_add_co_u32 v20, vcc_lo, v17, 1
	v_add_co_ci_u32_e32 v21, vcc_lo, 0, v18, vcc_lo
	s_waitcnt vmcnt(0)
	v_cmp_lt_i32_e32 vcc_lo, v0, v19
	s_delay_alu instid0(VALU_DEP_2) | instskip(SKIP_3) | instid1(SALU_CYCLE_1)
	v_dual_cndmask_b32 v15, v17, v15 :: v_dual_cndmask_b32 v14, v14, v21
	v_cndmask_b32_e32 v13, v13, v20, vcc_lo
	v_cndmask_b32_e32 v16, v18, v16, vcc_lo
	s_or_b32 exec_lo, exec_lo, s0
	s_mov_b32 s0, exec_lo
	s_delay_alu instid0(VALU_DEP_1)
	v_cmpx_lt_i64_e64 v[13:14], v[15:16]
	s_cbranch_execz .LBB22_68
.LBB22_65:
	s_mov_b32 s4, 0
	.p2align	6
.LBB22_66:                              ; =>This Inner Loop Header: Depth=1
	v_add_co_u32 v17, vcc_lo, v13, v15
	v_add_co_ci_u32_e32 v18, vcc_lo, v14, v16, vcc_lo
	s_delay_alu instid0(VALU_DEP_1) | instskip(NEXT) | instid1(VALU_DEP_1)
	v_ashrrev_i64 v[17:18], 1, v[17:18]
	v_lshlrev_b64 v[20:21], 2, v[17:18]
	s_delay_alu instid0(VALU_DEP_1) | instskip(NEXT) | instid1(VALU_DEP_2)
	v_add_co_u32 v20, vcc_lo, s2, v20
	v_add_co_ci_u32_e32 v21, vcc_lo, s3, v21, vcc_lo
	global_load_b32 v0, v[20:21], off
	v_add_co_u32 v20, vcc_lo, v17, 1
	v_add_co_ci_u32_e32 v21, vcc_lo, 0, v18, vcc_lo
	s_waitcnt vmcnt(0)
	v_cmp_lt_i32_e32 vcc_lo, v0, v19
	s_delay_alu instid0(VALU_DEP_2) | instskip(SKIP_1) | instid1(VALU_DEP_1)
	v_dual_cndmask_b32 v14, v14, v21 :: v_dual_cndmask_b32 v13, v13, v20
	v_dual_cndmask_b32 v16, v18, v16 :: v_dual_cndmask_b32 v15, v17, v15
	v_cmp_ge_i64_e32 vcc_lo, v[13:14], v[15:16]
	s_or_b32 s4, vcc_lo, s4
	s_delay_alu instid0(SALU_CYCLE_1)
	s_and_not1_b32 exec_lo, exec_lo, s4
	s_cbranch_execnz .LBB22_66
; %bb.67:
	s_or_b32 exec_lo, exec_lo, s4
.LBB22_68:
	s_delay_alu instid0(SALU_CYCLE_1)
	s_or_b32 exec_lo, exec_lo, s0
	v_sub_co_u32 v0, vcc_lo, v1, v7
	v_sub_co_ci_u32_e32 v1, vcc_lo, v2, v8, vcc_lo
	v_sub_co_u32 v17, vcc_lo, v11, v13
	v_sub_co_ci_u32_e32 v18, vcc_lo, v12, v14, vcc_lo
	s_mov_b32 s0, exec_lo
	s_delay_alu instid0(VALU_DEP_2) | instskip(NEXT) | instid1(VALU_DEP_2)
	v_add_co_u32 v15, vcc_lo, v17, v0
	v_add_co_ci_u32_e32 v16, vcc_lo, v18, v1, vcc_lo
	s_delay_alu instid0(VALU_DEP_1) | instskip(NEXT) | instid1(VALU_DEP_1)
	v_ashrrev_i64 v[0:1], 1, v[15:16]
	v_cmp_gt_i64_e32 vcc_lo, v[0:1], v[17:18]
	v_dual_cndmask_b32 v1, v18, v1 :: v_dual_cndmask_b32 v0, v17, v0
	s_delay_alu instid0(VALU_DEP_1) | instskip(NEXT) | instid1(VALU_DEP_2)
	v_add_co_u32 v2, vcc_lo, v13, v0
	v_add_co_ci_u32_e32 v14, vcc_lo, v14, v1, vcc_lo
	s_delay_alu instid0(VALU_DEP_2) | instskip(NEXT) | instid1(VALU_DEP_2)
	v_add_co_u32 v13, vcc_lo, v2, 1
	v_add_co_ci_u32_e32 v14, vcc_lo, 0, v14, vcc_lo
	s_delay_alu instid0(VALU_DEP_1) | instskip(SKIP_2) | instid1(VALU_DEP_2)
	v_cmp_gt_i64_e32 vcc_lo, s[6:7], v[13:14]
	v_cndmask_b32_e32 v13, s6, v13, vcc_lo
	v_cndmask_b32_e32 v2, s7, v14, vcc_lo
	v_sub_co_u32 v13, vcc_lo, v13, v11
	s_delay_alu instid0(VALU_DEP_2) | instskip(SKIP_2) | instid1(VALU_DEP_3)
	v_sub_co_ci_u32_e32 v14, vcc_lo, v2, v12, vcc_lo
	v_mov_b32_e32 v11, 0
	v_mov_b32_e32 v12, 0
	v_cmpx_lt_i64_e32 0, v[13:14]
	s_cbranch_execz .LBB22_72
; %bb.69:
	v_mov_b32_e32 v11, 0
	v_mov_b32_e32 v12, 0
	s_mov_b32 s2, 0
	.p2align	6
.LBB22_70:                              ; =>This Inner Loop Header: Depth=1
	s_delay_alu instid0(VALU_DEP_2) | instskip(NEXT) | instid1(VALU_DEP_2)
	v_add_co_u32 v20, vcc_lo, v11, v13
	v_add_co_ci_u32_e32 v21, vcc_lo, v12, v14, vcc_lo
	s_delay_alu instid0(VALU_DEP_1) | instskip(NEXT) | instid1(VALU_DEP_1)
	v_ashrrev_i64 v[20:21], 1, v[20:21]
	v_lshlrev_b64 v[22:23], 2, v[20:21]
	s_delay_alu instid0(VALU_DEP_1) | instskip(NEXT) | instid1(VALU_DEP_2)
	v_add_co_u32 v22, vcc_lo, v9, v22
	v_add_co_ci_u32_e32 v23, vcc_lo, v10, v23, vcc_lo
	global_load_b32 v2, v[22:23], off
	v_add_co_u32 v22, vcc_lo, v20, 1
	v_add_co_ci_u32_e32 v23, vcc_lo, 0, v21, vcc_lo
	s_waitcnt vmcnt(0)
	v_cmp_gt_i32_e32 vcc_lo, v2, v19
	s_delay_alu instid0(VALU_DEP_2) | instskip(SKIP_1) | instid1(VALU_DEP_1)
	v_dual_cndmask_b32 v12, v23, v12 :: v_dual_cndmask_b32 v11, v22, v11
	v_dual_cndmask_b32 v14, v14, v21 :: v_dual_cndmask_b32 v13, v13, v20
	v_cmp_ge_i64_e32 vcc_lo, v[11:12], v[13:14]
	s_or_b32 s2, vcc_lo, s2
	s_delay_alu instid0(SALU_CYCLE_1)
	s_and_not1_b32 exec_lo, exec_lo, s2
	s_cbranch_execnz .LBB22_70
; %bb.71:
	s_or_b32 exec_lo, exec_lo, s2
	v_ashrrev_i32_e32 v12, 31, v11
.LBB22_72:
	s_or_b32 exec_lo, exec_lo, s0
	v_add_co_u32 v9, vcc_lo, v11, v17
	s_delay_alu instid0(VALU_DEP_2) | instskip(SKIP_1) | instid1(VALU_DEP_1)
	v_add_co_ci_u32_e32 v10, vcc_lo, v12, v18, vcc_lo
	s_mov_b32 s2, 0
	v_cmp_lt_i64_e32 vcc_lo, v[9:10], v[0:1]
	v_dual_cndmask_b32 v2, v1, v10 :: v_dual_cndmask_b32 v13, v0, v9
	s_delay_alu instid0(VALU_DEP_1) | instskip(NEXT) | instid1(VALU_DEP_2)
	v_sub_co_u32 v11, vcc_lo, v15, v13
	v_sub_co_ci_u32_e32 v12, vcc_lo, v16, v2, vcc_lo
	v_add_co_u32 v13, vcc_lo, v13, 1
	v_add_co_ci_u32_e32 v14, vcc_lo, 0, v2, vcc_lo
	v_cmp_lt_i64_e32 vcc_lo, v[0:1], v[9:10]
	v_mov_b32_e32 v10, s2
	s_delay_alu instid0(VALU_DEP_3) | instskip(NEXT) | instid1(VALU_DEP_1)
	v_cmp_eq_u64_e64 s0, v[11:12], v[13:14]
	s_and_b32 s0, s0, vcc_lo
	v_add_co_u32 v1, vcc_lo, v11, v7
	v_cndmask_b32_e64 v9, 0, 1, s0
	v_add_co_ci_u32_e32 v2, vcc_lo, v12, v8, vcc_lo
.LBB22_73:
	s_or_b32 exec_lo, exec_lo, s1
	s_delay_alu instid0(VALU_DEP_2) | instskip(SKIP_2) | instid1(VALU_DEP_2)
	v_add_co_u32 v0, vcc_lo, v9, v3
	v_add_co_ci_u32_e32 v4, vcc_lo, v10, v4, vcc_lo
	s_mov_b32 s0, -1
	v_sub_co_u32 v3, vcc_lo, v0, v1
	s_delay_alu instid0(VALU_DEP_2)
	v_sub_co_ci_u32_e32 v4, vcc_lo, v4, v2, vcc_lo
.LBB22_74:
	s_and_saveexec_b32 s1, s0
	s_cbranch_execnz .LBB22_76
; %bb.75:
	s_endpgm
.LBB22_76:
	v_lshlrev_b64 v[5:6], 4, v[5:6]
	s_delay_alu instid0(VALU_DEP_1) | instskip(NEXT) | instid1(VALU_DEP_2)
	v_add_co_u32 v5, vcc_lo, s8, v5
	v_add_co_ci_u32_e32 v6, vcc_lo, s9, v6, vcc_lo
	global_store_b128 v[5:6], v[1:4], off
	s_nop 0
	s_sendmsg sendmsg(MSG_DEALLOC_VGPRS)
	s_endpgm
	.section	.rodata,"a",@progbits
	.p2align	6, 0x0
	.amdhsa_kernel _ZN6thrust23THRUST_200600_302600_NS11hip_rocprim14__parallel_for6kernelILj256EZNS1_16__set_operations9doit_stepILb0ENS0_6detail15normal_iteratorINS0_10device_ptrIKiEEEESB_PiSC_lNS7_INS8_IiEEEESC_NS0_4lessIiEENS4_23serial_set_intersectionEEE10hipError_tPvRmT0_T1_T2_T3_T4_SP_T5_T6_PSP_T7_T8_P12ihipStream_tbEUllE_jLj1EEEvSL_SM_SM_
		.amdhsa_group_segment_fixed_size 0
		.amdhsa_private_segment_fixed_size 0
		.amdhsa_kernarg_size 56
		.amdhsa_user_sgpr_count 15
		.amdhsa_user_sgpr_dispatch_ptr 0
		.amdhsa_user_sgpr_queue_ptr 0
		.amdhsa_user_sgpr_kernarg_segment_ptr 1
		.amdhsa_user_sgpr_dispatch_id 0
		.amdhsa_user_sgpr_private_segment_size 0
		.amdhsa_wavefront_size32 1
		.amdhsa_uses_dynamic_stack 0
		.amdhsa_enable_private_segment 0
		.amdhsa_system_sgpr_workgroup_id_x 1
		.amdhsa_system_sgpr_workgroup_id_y 0
		.amdhsa_system_sgpr_workgroup_id_z 0
		.amdhsa_system_sgpr_workgroup_info 0
		.amdhsa_system_vgpr_workitem_id 0
		.amdhsa_next_free_vgpr 25
		.amdhsa_next_free_sgpr 16
		.amdhsa_reserve_vcc 1
		.amdhsa_float_round_mode_32 0
		.amdhsa_float_round_mode_16_64 0
		.amdhsa_float_denorm_mode_32 3
		.amdhsa_float_denorm_mode_16_64 3
		.amdhsa_dx10_clamp 1
		.amdhsa_ieee_mode 1
		.amdhsa_fp16_overflow 0
		.amdhsa_workgroup_processor_mode 1
		.amdhsa_memory_ordered 1
		.amdhsa_forward_progress 0
		.amdhsa_shared_vgpr_count 0
		.amdhsa_exception_fp_ieee_invalid_op 0
		.amdhsa_exception_fp_denorm_src 0
		.amdhsa_exception_fp_ieee_div_zero 0
		.amdhsa_exception_fp_ieee_overflow 0
		.amdhsa_exception_fp_ieee_underflow 0
		.amdhsa_exception_fp_ieee_inexact 0
		.amdhsa_exception_int_div_zero 0
	.end_amdhsa_kernel
	.section	.text._ZN6thrust23THRUST_200600_302600_NS11hip_rocprim14__parallel_for6kernelILj256EZNS1_16__set_operations9doit_stepILb0ENS0_6detail15normal_iteratorINS0_10device_ptrIKiEEEESB_PiSC_lNS7_INS8_IiEEEESC_NS0_4lessIiEENS4_23serial_set_intersectionEEE10hipError_tPvRmT0_T1_T2_T3_T4_SP_T5_T6_PSP_T7_T8_P12ihipStream_tbEUllE_jLj1EEEvSL_SM_SM_,"axG",@progbits,_ZN6thrust23THRUST_200600_302600_NS11hip_rocprim14__parallel_for6kernelILj256EZNS1_16__set_operations9doit_stepILb0ENS0_6detail15normal_iteratorINS0_10device_ptrIKiEEEESB_PiSC_lNS7_INS8_IiEEEESC_NS0_4lessIiEENS4_23serial_set_intersectionEEE10hipError_tPvRmT0_T1_T2_T3_T4_SP_T5_T6_PSP_T7_T8_P12ihipStream_tbEUllE_jLj1EEEvSL_SM_SM_,comdat
.Lfunc_end22:
	.size	_ZN6thrust23THRUST_200600_302600_NS11hip_rocprim14__parallel_for6kernelILj256EZNS1_16__set_operations9doit_stepILb0ENS0_6detail15normal_iteratorINS0_10device_ptrIKiEEEESB_PiSC_lNS7_INS8_IiEEEESC_NS0_4lessIiEENS4_23serial_set_intersectionEEE10hipError_tPvRmT0_T1_T2_T3_T4_SP_T5_T6_PSP_T7_T8_P12ihipStream_tbEUllE_jLj1EEEvSL_SM_SM_, .Lfunc_end22-_ZN6thrust23THRUST_200600_302600_NS11hip_rocprim14__parallel_for6kernelILj256EZNS1_16__set_operations9doit_stepILb0ENS0_6detail15normal_iteratorINS0_10device_ptrIKiEEEESB_PiSC_lNS7_INS8_IiEEEESC_NS0_4lessIiEENS4_23serial_set_intersectionEEE10hipError_tPvRmT0_T1_T2_T3_T4_SP_T5_T6_PSP_T7_T8_P12ihipStream_tbEUllE_jLj1EEEvSL_SM_SM_
                                        ; -- End function
	.section	.AMDGPU.csdata,"",@progbits
; Kernel info:
; codeLenInByte = 5124
; NumSgprs: 18
; NumVgprs: 25
; ScratchSize: 0
; MemoryBound: 0
; FloatMode: 240
; IeeeMode: 1
; LDSByteSize: 0 bytes/workgroup (compile time only)
; SGPRBlocks: 2
; VGPRBlocks: 3
; NumSGPRsForWavesPerEU: 18
; NumVGPRsForWavesPerEU: 25
; Occupancy: 16
; WaveLimiterHint : 0
; COMPUTE_PGM_RSRC2:SCRATCH_EN: 0
; COMPUTE_PGM_RSRC2:USER_SGPR: 15
; COMPUTE_PGM_RSRC2:TRAP_HANDLER: 0
; COMPUTE_PGM_RSRC2:TGID_X_EN: 1
; COMPUTE_PGM_RSRC2:TGID_Y_EN: 0
; COMPUTE_PGM_RSRC2:TGID_Z_EN: 0
; COMPUTE_PGM_RSRC2:TIDIG_COMP_CNT: 0
	.section	.text._ZN6thrust23THRUST_200600_302600_NS11hip_rocprim16__set_operations22lookback_set_op_kernelIN7rocprim17ROCPRIM_400000_NS13kernel_configILj256ELj16ELj4294967295EEELb0ENS0_6detail15normal_iteratorINS0_10device_ptrIKiEEEESD_PiSE_lNS9_INSA_IiEEEESE_NS0_4lessIiEENS2_23serial_set_intersectionENS5_6detail19lookback_scan_stateIlLb0ELb1EEEEEvT1_T2_T3_T4_T6_T7_T8_T9_PNS0_4pairIT5_SW_EEPSW_T10_NSK_16ordered_block_idIjEE,"axG",@progbits,_ZN6thrust23THRUST_200600_302600_NS11hip_rocprim16__set_operations22lookback_set_op_kernelIN7rocprim17ROCPRIM_400000_NS13kernel_configILj256ELj16ELj4294967295EEELb0ENS0_6detail15normal_iteratorINS0_10device_ptrIKiEEEESD_PiSE_lNS9_INSA_IiEEEESE_NS0_4lessIiEENS2_23serial_set_intersectionENS5_6detail19lookback_scan_stateIlLb0ELb1EEEEEvT1_T2_T3_T4_T6_T7_T8_T9_PNS0_4pairIT5_SW_EEPSW_T10_NSK_16ordered_block_idIjEE,comdat
	.protected	_ZN6thrust23THRUST_200600_302600_NS11hip_rocprim16__set_operations22lookback_set_op_kernelIN7rocprim17ROCPRIM_400000_NS13kernel_configILj256ELj16ELj4294967295EEELb0ENS0_6detail15normal_iteratorINS0_10device_ptrIKiEEEESD_PiSE_lNS9_INSA_IiEEEESE_NS0_4lessIiEENS2_23serial_set_intersectionENS5_6detail19lookback_scan_stateIlLb0ELb1EEEEEvT1_T2_T3_T4_T6_T7_T8_T9_PNS0_4pairIT5_SW_EEPSW_T10_NSK_16ordered_block_idIjEE ; -- Begin function _ZN6thrust23THRUST_200600_302600_NS11hip_rocprim16__set_operations22lookback_set_op_kernelIN7rocprim17ROCPRIM_400000_NS13kernel_configILj256ELj16ELj4294967295EEELb0ENS0_6detail15normal_iteratorINS0_10device_ptrIKiEEEESD_PiSE_lNS9_INSA_IiEEEESE_NS0_4lessIiEENS2_23serial_set_intersectionENS5_6detail19lookback_scan_stateIlLb0ELb1EEEEEvT1_T2_T3_T4_T6_T7_T8_T9_PNS0_4pairIT5_SW_EEPSW_T10_NSK_16ordered_block_idIjEE
	.globl	_ZN6thrust23THRUST_200600_302600_NS11hip_rocprim16__set_operations22lookback_set_op_kernelIN7rocprim17ROCPRIM_400000_NS13kernel_configILj256ELj16ELj4294967295EEELb0ENS0_6detail15normal_iteratorINS0_10device_ptrIKiEEEESD_PiSE_lNS9_INSA_IiEEEESE_NS0_4lessIiEENS2_23serial_set_intersectionENS5_6detail19lookback_scan_stateIlLb0ELb1EEEEEvT1_T2_T3_T4_T6_T7_T8_T9_PNS0_4pairIT5_SW_EEPSW_T10_NSK_16ordered_block_idIjEE
	.p2align	8
	.type	_ZN6thrust23THRUST_200600_302600_NS11hip_rocprim16__set_operations22lookback_set_op_kernelIN7rocprim17ROCPRIM_400000_NS13kernel_configILj256ELj16ELj4294967295EEELb0ENS0_6detail15normal_iteratorINS0_10device_ptrIKiEEEESD_PiSE_lNS9_INSA_IiEEEESE_NS0_4lessIiEENS2_23serial_set_intersectionENS5_6detail19lookback_scan_stateIlLb0ELb1EEEEEvT1_T2_T3_T4_T6_T7_T8_T9_PNS0_4pairIT5_SW_EEPSW_T10_NSK_16ordered_block_idIjEE,@function
_ZN6thrust23THRUST_200600_302600_NS11hip_rocprim16__set_operations22lookback_set_op_kernelIN7rocprim17ROCPRIM_400000_NS13kernel_configILj256ELj16ELj4294967295EEELb0ENS0_6detail15normal_iteratorINS0_10device_ptrIKiEEEESD_PiSE_lNS9_INSA_IiEEEESE_NS0_4lessIiEENS2_23serial_set_intersectionENS5_6detail19lookback_scan_stateIlLb0ELb1EEEEEvT1_T2_T3_T4_T6_T7_T8_T9_PNS0_4pairIT5_SW_EEPSW_T10_NSK_16ordered_block_idIjEE: ; @_ZN6thrust23THRUST_200600_302600_NS11hip_rocprim16__set_operations22lookback_set_op_kernelIN7rocprim17ROCPRIM_400000_NS13kernel_configILj256ELj16ELj4294967295EEELb0ENS0_6detail15normal_iteratorINS0_10device_ptrIKiEEEESD_PiSE_lNS9_INSA_IiEEEESE_NS0_4lessIiEENS2_23serial_set_intersectionENS5_6detail19lookback_scan_stateIlLb0ELb1EEEEEvT1_T2_T3_T4_T6_T7_T8_T9_PNS0_4pairIT5_SW_EEPSW_T10_NSK_16ordered_block_idIjEE
; %bb.0:
	s_clause 0x2
	s_load_b32 s3, s[0:1], 0x64
	s_load_b32 s2, s[0:1], 0x58
	s_load_b256 s[24:31], s[0:1], 0x38
	v_bfe_u32 v1, v0, 10, 10
	v_bfe_u32 v2, v0, 20, 10
	v_and_b32_e32 v16, 0x3ff, v0
	s_waitcnt lgkmcnt(0)
	s_lshr_b32 s4, s3, 16
	s_and_b32 s3, s3, 0xffff
	v_mad_u32_u24 v1, v2, s4, v1
	s_delay_alu instid0(VALU_DEP_1) | instskip(SKIP_2) | instid1(VALU_DEP_1)
	v_mul_lo_u32 v0, v1, s3
	v_sub_nc_u32_e32 v1, 0, v16
	s_mov_b32 s3, exec_lo
	v_cmpx_eq_u32_e64 v0, v1
	s_cbranch_execz .LBB23_4
; %bb.1:
	s_mov_b32 s5, exec_lo
	s_mov_b32 s4, exec_lo
	v_mbcnt_lo_u32_b32 v0, s5, 0
                                        ; implicit-def: $vgpr1
	s_delay_alu instid0(VALU_DEP_1)
	v_cmpx_eq_u32_e32 0, v0
	s_cbranch_execz .LBB23_3
; %bb.2:
	s_bcnt1_i32_b32 s5, s5
	s_delay_alu instid0(SALU_CYCLE_1)
	v_dual_mov_b32 v1, 0 :: v_dual_mov_b32 v2, s5
	global_atomic_add_u32 v1, v1, v2, s[30:31] glc
.LBB23_3:
	s_or_b32 exec_lo, exec_lo, s4
	s_waitcnt vmcnt(0)
	v_readfirstlane_b32 s4, v1
	s_delay_alu instid0(VALU_DEP_1)
	v_dual_mov_b32 v1, 0 :: v_dual_add_nc_u32 v0, s4, v0
	ds_store_b32 v1, v0 offset:36864
.LBB23_4:
	s_or_b32 exec_lo, exec_lo, s3
	v_mov_b32_e32 v4, 0
	s_waitcnt lgkmcnt(0)
	s_barrier
	buffer_gl0_inv
	s_add_i32 s8, s2, -1
	ds_load_b32 v8, v4 offset:36864
	s_waitcnt lgkmcnt(0)
	v_readfirstlane_b32 s30, v8
	v_cmp_le_i32_e32 vcc_lo, s8, v8
	s_delay_alu instid0(VALU_DEP_2) | instskip(NEXT) | instid1(SALU_CYCLE_1)
	s_ashr_i32 s31, s30, 31
	s_lshl_b64 s[4:5], s[30:31], 4
	s_delay_alu instid0(SALU_CYCLE_1)
	s_add_u32 s2, s24, s4
	s_addc_u32 s3, s25, s5
	s_clause 0x1
	s_load_b128 s[4:7], s[0:1], 0x0
	s_load_b64 s[24:25], s[0:1], 0x20
	s_clause 0x1
	global_load_b128 v[0:3], v4, s[2:3]
	global_load_b128 v[4:7], v4, s[2:3] offset:16
	s_and_b32 vcc_lo, exec_lo, vcc_lo
	s_waitcnt vmcnt(1)
	v_readfirstlane_b32 s2, v0
	s_waitcnt vmcnt(0)
	v_sub_nc_u32_e32 v17, v6, v2
	v_lshlrev_b64 v[2:3], 2, v[2:3]
	v_readfirstlane_b32 s1, v4
	v_mov_b32_e32 v0, s2
	s_delay_alu instid0(VALU_DEP_2) | instskip(NEXT) | instid1(VALU_DEP_1)
	s_sub_i32 s23, s1, s2
	v_lshlrev_b64 v[0:1], 2, v[0:1]
	s_waitcnt lgkmcnt(0)
	s_delay_alu instid0(VALU_DEP_1) | instskip(NEXT) | instid1(VALU_DEP_1)
	v_add_co_u32 v20, s0, s4, v0
	v_add_co_ci_u32_e64 v21, s0, s5, v1, s0
	v_add_co_u32 v18, s0, s6, v2
	s_delay_alu instid0(VALU_DEP_1)
	v_add_co_ci_u32_e64 v19, s0, s7, v3, s0
	s_mov_b32 s0, -1
	s_cbranch_vccz .LBB23_250
; %bb.5:
	v_add_nc_u32_e32 v23, s23, v17
	s_mov_b32 s0, exec_lo
                                        ; implicit-def: $vgpr0_vgpr1_vgpr2_vgpr3_vgpr4_vgpr5_vgpr6_vgpr7_vgpr8_vgpr9_vgpr10_vgpr11_vgpr12_vgpr13_vgpr14_vgpr15
	s_delay_alu instid0(VALU_DEP_1)
	v_cmpx_lt_i32_e64 v16, v23
	s_cbranch_execz .LBB23_7
; %bb.6:
	v_subrev_nc_u32_e32 v0, s23, v16
	v_lshlrev_b32_e32 v2, 2, v16
	s_delay_alu instid0(VALU_DEP_2) | instskip(NEXT) | instid1(VALU_DEP_2)
	v_ashrrev_i32_e32 v1, 31, v0
	v_add_co_u32 v2, vcc_lo, v20, v2
	v_add_co_ci_u32_e32 v3, vcc_lo, 0, v21, vcc_lo
	s_delay_alu instid0(VALU_DEP_3) | instskip(NEXT) | instid1(VALU_DEP_1)
	v_lshlrev_b64 v[0:1], 2, v[0:1]
	v_add_co_u32 v0, vcc_lo, v18, v0
	s_delay_alu instid0(VALU_DEP_2) | instskip(SKIP_1) | instid1(VALU_DEP_2)
	v_add_co_ci_u32_e32 v1, vcc_lo, v19, v1, vcc_lo
	v_cmp_gt_i32_e32 vcc_lo, s23, v16
	v_dual_cndmask_b32 v1, v1, v3 :: v_dual_cndmask_b32 v0, v0, v2
	global_load_b32 v0, v[0:1], off
.LBB23_7:
	s_or_b32 exec_lo, exec_lo, s0
	v_add_nc_u32_e32 v22, 0x100, v16
	s_mov_b32 s0, exec_lo
	s_delay_alu instid0(VALU_DEP_1)
	v_cmpx_lt_i32_e64 v22, v23
	s_cbranch_execz .LBB23_9
; %bb.8:
	s_ashr_i32 s1, s23, 31
	v_sub_co_u32 v24, s2, v16, s23
	s_delay_alu instid0(VALU_DEP_1) | instskip(SKIP_1) | instid1(VALU_DEP_2)
	v_sub_co_ci_u32_e64 v25, null, 0, s1, s2
	v_lshlrev_b32_e32 v1, 2, v16
	v_lshlrev_b64 v[24:25], 2, v[24:25]
	s_delay_alu instid0(VALU_DEP_2) | instskip(SKIP_1) | instid1(VALU_DEP_3)
	v_add_co_u32 v1, vcc_lo, v20, v1
	v_add_co_ci_u32_e32 v26, vcc_lo, 0, v21, vcc_lo
	v_add_co_u32 v24, vcc_lo, v18, v24
	s_delay_alu instid0(VALU_DEP_4) | instskip(SKIP_1) | instid1(VALU_DEP_2)
	v_add_co_ci_u32_e32 v25, vcc_lo, v19, v25, vcc_lo
	v_cmp_gt_i32_e32 vcc_lo, s23, v22
	v_dual_cndmask_b32 v25, v25, v26 :: v_dual_cndmask_b32 v24, v24, v1
	global_load_b32 v1, v[24:25], off offset:1024
.LBB23_9:
	s_or_b32 exec_lo, exec_lo, s0
	v_add_nc_u32_e32 v22, 0x200, v16
	s_mov_b32 s0, exec_lo
	s_delay_alu instid0(VALU_DEP_1)
	v_cmpx_lt_i32_e64 v22, v23
	s_cbranch_execz .LBB23_11
; %bb.10:
	s_ashr_i32 s1, s23, 31
	v_sub_co_u32 v24, s2, v16, s23
	s_delay_alu instid0(VALU_DEP_1) | instskip(SKIP_1) | instid1(VALU_DEP_2)
	v_sub_co_ci_u32_e64 v25, null, 0, s1, s2
	v_lshlrev_b32_e32 v2, 2, v16
	v_lshlrev_b64 v[24:25], 2, v[24:25]
	s_delay_alu instid0(VALU_DEP_2) | instskip(SKIP_1) | instid1(VALU_DEP_3)
	v_add_co_u32 v2, vcc_lo, v20, v2
	v_add_co_ci_u32_e32 v26, vcc_lo, 0, v21, vcc_lo
	v_add_co_u32 v24, vcc_lo, v18, v24
	s_delay_alu instid0(VALU_DEP_4) | instskip(SKIP_1) | instid1(VALU_DEP_2)
	v_add_co_ci_u32_e32 v25, vcc_lo, v19, v25, vcc_lo
	v_cmp_gt_i32_e32 vcc_lo, s23, v22
	v_cndmask_b32_e32 v25, v25, v26, vcc_lo
	s_delay_alu instid0(VALU_DEP_4)
	v_cndmask_b32_e32 v24, v24, v2, vcc_lo
	global_load_b32 v2, v[24:25], off offset:2048
.LBB23_11:
	s_or_b32 exec_lo, exec_lo, s0
	v_add_nc_u32_e32 v22, 0x300, v16
	s_mov_b32 s0, exec_lo
	s_delay_alu instid0(VALU_DEP_1)
	v_cmpx_lt_i32_e64 v22, v23
	s_cbranch_execz .LBB23_13
; %bb.12:
	s_ashr_i32 s1, s23, 31
	v_sub_co_u32 v24, s2, v16, s23
	s_delay_alu instid0(VALU_DEP_1) | instskip(SKIP_1) | instid1(VALU_DEP_2)
	v_sub_co_ci_u32_e64 v25, null, 0, s1, s2
	v_lshlrev_b32_e32 v3, 2, v16
	v_lshlrev_b64 v[24:25], 2, v[24:25]
	s_delay_alu instid0(VALU_DEP_2) | instskip(SKIP_1) | instid1(VALU_DEP_3)
	v_add_co_u32 v3, vcc_lo, v20, v3
	v_add_co_ci_u32_e32 v26, vcc_lo, 0, v21, vcc_lo
	v_add_co_u32 v24, vcc_lo, v18, v24
	s_delay_alu instid0(VALU_DEP_4) | instskip(SKIP_1) | instid1(VALU_DEP_2)
	v_add_co_ci_u32_e32 v25, vcc_lo, v19, v25, vcc_lo
	v_cmp_gt_i32_e32 vcc_lo, s23, v22
	v_dual_cndmask_b32 v25, v25, v26 :: v_dual_cndmask_b32 v24, v24, v3
	global_load_b32 v3, v[24:25], off offset:3072
.LBB23_13:
	s_or_b32 exec_lo, exec_lo, s0
	v_or_b32_e32 v22, 0x400, v16
	s_mov_b32 s0, exec_lo
	s_delay_alu instid0(VALU_DEP_1)
	v_cmpx_lt_i32_e64 v22, v23
	s_cbranch_execz .LBB23_15
; %bb.14:
	v_subrev_nc_u32_e32 v24, s23, v22
	v_lshlrev_b32_e32 v4, 2, v22
	s_delay_alu instid0(VALU_DEP_2) | instskip(NEXT) | instid1(VALU_DEP_2)
	v_ashrrev_i32_e32 v25, 31, v24
	v_add_co_u32 v4, vcc_lo, v20, v4
	v_add_co_ci_u32_e32 v26, vcc_lo, 0, v21, vcc_lo
	s_delay_alu instid0(VALU_DEP_3) | instskip(NEXT) | instid1(VALU_DEP_1)
	v_lshlrev_b64 v[24:25], 2, v[24:25]
	v_add_co_u32 v24, vcc_lo, v18, v24
	s_delay_alu instid0(VALU_DEP_2) | instskip(SKIP_1) | instid1(VALU_DEP_2)
	v_add_co_ci_u32_e32 v25, vcc_lo, v19, v25, vcc_lo
	v_cmp_gt_i32_e32 vcc_lo, s23, v22
	v_dual_cndmask_b32 v25, v25, v26 :: v_dual_cndmask_b32 v24, v24, v4
	global_load_b32 v4, v[24:25], off
.LBB23_15:
	s_or_b32 exec_lo, exec_lo, s0
	v_add_nc_u32_e32 v22, 0x500, v16
	s_mov_b32 s0, exec_lo
	s_delay_alu instid0(VALU_DEP_1)
	v_cmpx_lt_i32_e64 v22, v23
	s_cbranch_execz .LBB23_17
; %bb.16:
	v_subrev_nc_u32_e32 v24, s23, v22
	v_lshlrev_b32_e32 v5, 2, v22
	s_delay_alu instid0(VALU_DEP_2) | instskip(NEXT) | instid1(VALU_DEP_2)
	v_ashrrev_i32_e32 v25, 31, v24
	v_add_co_u32 v5, vcc_lo, v20, v5
	v_add_co_ci_u32_e32 v26, vcc_lo, 0, v21, vcc_lo
	s_delay_alu instid0(VALU_DEP_3) | instskip(NEXT) | instid1(VALU_DEP_1)
	v_lshlrev_b64 v[24:25], 2, v[24:25]
	v_add_co_u32 v24, vcc_lo, v18, v24
	s_delay_alu instid0(VALU_DEP_2) | instskip(SKIP_1) | instid1(VALU_DEP_2)
	v_add_co_ci_u32_e32 v25, vcc_lo, v19, v25, vcc_lo
	v_cmp_gt_i32_e32 vcc_lo, s23, v22
	v_dual_cndmask_b32 v25, v25, v26 :: v_dual_cndmask_b32 v24, v24, v5
	global_load_b32 v5, v[24:25], off
.LBB23_17:
	s_or_b32 exec_lo, exec_lo, s0
	v_add_nc_u32_e32 v22, 0x600, v16
	s_mov_b32 s0, exec_lo
	s_delay_alu instid0(VALU_DEP_1)
	v_cmpx_lt_i32_e64 v22, v23
	s_cbranch_execz .LBB23_19
; %bb.18:
	v_subrev_nc_u32_e32 v24, s23, v22
	v_lshlrev_b32_e32 v6, 2, v22
	s_delay_alu instid0(VALU_DEP_2) | instskip(NEXT) | instid1(VALU_DEP_2)
	v_ashrrev_i32_e32 v25, 31, v24
	v_add_co_u32 v6, vcc_lo, v20, v6
	v_add_co_ci_u32_e32 v26, vcc_lo, 0, v21, vcc_lo
	s_delay_alu instid0(VALU_DEP_3) | instskip(NEXT) | instid1(VALU_DEP_1)
	v_lshlrev_b64 v[24:25], 2, v[24:25]
	v_add_co_u32 v24, vcc_lo, v18, v24
	s_delay_alu instid0(VALU_DEP_2) | instskip(SKIP_1) | instid1(VALU_DEP_2)
	v_add_co_ci_u32_e32 v25, vcc_lo, v19, v25, vcc_lo
	v_cmp_gt_i32_e32 vcc_lo, s23, v22
	v_cndmask_b32_e32 v25, v25, v26, vcc_lo
	s_delay_alu instid0(VALU_DEP_4)
	v_cndmask_b32_e32 v24, v24, v6, vcc_lo
	global_load_b32 v6, v[24:25], off
.LBB23_19:
	s_or_b32 exec_lo, exec_lo, s0
	v_add_nc_u32_e32 v22, 0x700, v16
	s_mov_b32 s0, exec_lo
	s_delay_alu instid0(VALU_DEP_1)
	v_cmpx_lt_i32_e64 v22, v23
	s_cbranch_execz .LBB23_21
; %bb.20:
	v_subrev_nc_u32_e32 v24, s23, v22
	v_lshlrev_b32_e32 v7, 2, v22
	s_delay_alu instid0(VALU_DEP_2) | instskip(NEXT) | instid1(VALU_DEP_2)
	v_ashrrev_i32_e32 v25, 31, v24
	v_add_co_u32 v7, vcc_lo, v20, v7
	v_add_co_ci_u32_e32 v26, vcc_lo, 0, v21, vcc_lo
	s_delay_alu instid0(VALU_DEP_3) | instskip(NEXT) | instid1(VALU_DEP_1)
	v_lshlrev_b64 v[24:25], 2, v[24:25]
	v_add_co_u32 v24, vcc_lo, v18, v24
	s_delay_alu instid0(VALU_DEP_2) | instskip(SKIP_1) | instid1(VALU_DEP_2)
	v_add_co_ci_u32_e32 v25, vcc_lo, v19, v25, vcc_lo
	v_cmp_gt_i32_e32 vcc_lo, s23, v22
	v_dual_cndmask_b32 v25, v25, v26 :: v_dual_cndmask_b32 v24, v24, v7
	global_load_b32 v7, v[24:25], off
.LBB23_21:
	s_or_b32 exec_lo, exec_lo, s0
	v_or_b32_e32 v22, 0x800, v16
	s_mov_b32 s0, exec_lo
	s_delay_alu instid0(VALU_DEP_1)
	v_cmpx_lt_i32_e64 v22, v23
	s_cbranch_execz .LBB23_23
; %bb.22:
	v_subrev_nc_u32_e32 v24, s23, v22
	v_lshlrev_b32_e32 v8, 2, v22
	s_delay_alu instid0(VALU_DEP_2) | instskip(NEXT) | instid1(VALU_DEP_2)
	v_ashrrev_i32_e32 v25, 31, v24
	v_add_co_u32 v8, vcc_lo, v20, v8
	v_add_co_ci_u32_e32 v26, vcc_lo, 0, v21, vcc_lo
	s_delay_alu instid0(VALU_DEP_3) | instskip(NEXT) | instid1(VALU_DEP_1)
	v_lshlrev_b64 v[24:25], 2, v[24:25]
	v_add_co_u32 v24, vcc_lo, v18, v24
	s_delay_alu instid0(VALU_DEP_2) | instskip(SKIP_1) | instid1(VALU_DEP_2)
	v_add_co_ci_u32_e32 v25, vcc_lo, v19, v25, vcc_lo
	v_cmp_gt_i32_e32 vcc_lo, s23, v22
	v_dual_cndmask_b32 v25, v25, v26 :: v_dual_cndmask_b32 v24, v24, v8
	global_load_b32 v8, v[24:25], off
.LBB23_23:
	s_or_b32 exec_lo, exec_lo, s0
	v_add_nc_u32_e32 v22, 0x900, v16
	s_mov_b32 s0, exec_lo
	s_delay_alu instid0(VALU_DEP_1)
	v_cmpx_lt_i32_e64 v22, v23
	s_cbranch_execz .LBB23_25
; %bb.24:
	v_subrev_nc_u32_e32 v24, s23, v22
	v_lshlrev_b32_e32 v9, 2, v22
	s_delay_alu instid0(VALU_DEP_2) | instskip(NEXT) | instid1(VALU_DEP_2)
	v_ashrrev_i32_e32 v25, 31, v24
	v_add_co_u32 v9, vcc_lo, v20, v9
	v_add_co_ci_u32_e32 v26, vcc_lo, 0, v21, vcc_lo
	s_delay_alu instid0(VALU_DEP_3) | instskip(NEXT) | instid1(VALU_DEP_1)
	v_lshlrev_b64 v[24:25], 2, v[24:25]
	v_add_co_u32 v24, vcc_lo, v18, v24
	s_delay_alu instid0(VALU_DEP_2) | instskip(SKIP_1) | instid1(VALU_DEP_2)
	v_add_co_ci_u32_e32 v25, vcc_lo, v19, v25, vcc_lo
	v_cmp_gt_i32_e32 vcc_lo, s23, v22
	v_dual_cndmask_b32 v25, v25, v26 :: v_dual_cndmask_b32 v24, v24, v9
	global_load_b32 v9, v[24:25], off
.LBB23_25:
	s_or_b32 exec_lo, exec_lo, s0
	v_add_nc_u32_e32 v22, 0xa00, v16
	s_mov_b32 s0, exec_lo
	s_delay_alu instid0(VALU_DEP_1)
	v_cmpx_lt_i32_e64 v22, v23
	s_cbranch_execz .LBB23_27
; %bb.26:
	v_subrev_nc_u32_e32 v24, s23, v22
	v_lshlrev_b32_e32 v10, 2, v22
	s_delay_alu instid0(VALU_DEP_2) | instskip(NEXT) | instid1(VALU_DEP_2)
	v_ashrrev_i32_e32 v25, 31, v24
	v_add_co_u32 v10, vcc_lo, v20, v10
	v_add_co_ci_u32_e32 v26, vcc_lo, 0, v21, vcc_lo
	s_delay_alu instid0(VALU_DEP_3) | instskip(NEXT) | instid1(VALU_DEP_1)
	v_lshlrev_b64 v[24:25], 2, v[24:25]
	v_add_co_u32 v24, vcc_lo, v18, v24
	s_delay_alu instid0(VALU_DEP_2) | instskip(SKIP_1) | instid1(VALU_DEP_2)
	v_add_co_ci_u32_e32 v25, vcc_lo, v19, v25, vcc_lo
	v_cmp_gt_i32_e32 vcc_lo, s23, v22
	v_cndmask_b32_e32 v25, v25, v26, vcc_lo
	s_delay_alu instid0(VALU_DEP_4)
	v_cndmask_b32_e32 v24, v24, v10, vcc_lo
	global_load_b32 v10, v[24:25], off
.LBB23_27:
	s_or_b32 exec_lo, exec_lo, s0
	v_add_nc_u32_e32 v22, 0xb00, v16
	s_mov_b32 s0, exec_lo
	s_delay_alu instid0(VALU_DEP_1)
	v_cmpx_lt_i32_e64 v22, v23
	s_cbranch_execz .LBB23_29
; %bb.28:
	v_subrev_nc_u32_e32 v24, s23, v22
	v_lshlrev_b32_e32 v11, 2, v22
	s_delay_alu instid0(VALU_DEP_2) | instskip(NEXT) | instid1(VALU_DEP_2)
	v_ashrrev_i32_e32 v25, 31, v24
	v_add_co_u32 v11, vcc_lo, v20, v11
	v_add_co_ci_u32_e32 v26, vcc_lo, 0, v21, vcc_lo
	s_delay_alu instid0(VALU_DEP_3) | instskip(NEXT) | instid1(VALU_DEP_1)
	v_lshlrev_b64 v[24:25], 2, v[24:25]
	v_add_co_u32 v24, vcc_lo, v18, v24
	s_delay_alu instid0(VALU_DEP_2) | instskip(SKIP_1) | instid1(VALU_DEP_2)
	v_add_co_ci_u32_e32 v25, vcc_lo, v19, v25, vcc_lo
	v_cmp_gt_i32_e32 vcc_lo, s23, v22
	v_dual_cndmask_b32 v25, v25, v26 :: v_dual_cndmask_b32 v24, v24, v11
	global_load_b32 v11, v[24:25], off
.LBB23_29:
	s_or_b32 exec_lo, exec_lo, s0
	v_or_b32_e32 v22, 0xc00, v16
	s_mov_b32 s0, exec_lo
	s_delay_alu instid0(VALU_DEP_1)
	v_cmpx_lt_i32_e64 v22, v23
	s_cbranch_execz .LBB23_31
; %bb.30:
	v_subrev_nc_u32_e32 v24, s23, v22
	v_lshlrev_b32_e32 v12, 2, v22
	s_delay_alu instid0(VALU_DEP_2) | instskip(NEXT) | instid1(VALU_DEP_2)
	v_ashrrev_i32_e32 v25, 31, v24
	v_add_co_u32 v12, vcc_lo, v20, v12
	v_add_co_ci_u32_e32 v26, vcc_lo, 0, v21, vcc_lo
	s_delay_alu instid0(VALU_DEP_3) | instskip(NEXT) | instid1(VALU_DEP_1)
	v_lshlrev_b64 v[24:25], 2, v[24:25]
	v_add_co_u32 v24, vcc_lo, v18, v24
	s_delay_alu instid0(VALU_DEP_2) | instskip(SKIP_1) | instid1(VALU_DEP_2)
	v_add_co_ci_u32_e32 v25, vcc_lo, v19, v25, vcc_lo
	v_cmp_gt_i32_e32 vcc_lo, s23, v22
	v_dual_cndmask_b32 v25, v25, v26 :: v_dual_cndmask_b32 v24, v24, v12
	global_load_b32 v12, v[24:25], off
.LBB23_31:
	s_or_b32 exec_lo, exec_lo, s0
	v_add_nc_u32_e32 v22, 0xd00, v16
	s_mov_b32 s0, exec_lo
	s_delay_alu instid0(VALU_DEP_1)
	v_cmpx_lt_i32_e64 v22, v23
	s_cbranch_execz .LBB23_33
; %bb.32:
	v_subrev_nc_u32_e32 v24, s23, v22
	v_lshlrev_b32_e32 v13, 2, v22
	s_delay_alu instid0(VALU_DEP_2) | instskip(NEXT) | instid1(VALU_DEP_2)
	v_ashrrev_i32_e32 v25, 31, v24
	v_add_co_u32 v13, vcc_lo, v20, v13
	v_add_co_ci_u32_e32 v26, vcc_lo, 0, v21, vcc_lo
	s_delay_alu instid0(VALU_DEP_3) | instskip(NEXT) | instid1(VALU_DEP_1)
	v_lshlrev_b64 v[24:25], 2, v[24:25]
	v_add_co_u32 v24, vcc_lo, v18, v24
	s_delay_alu instid0(VALU_DEP_2) | instskip(SKIP_1) | instid1(VALU_DEP_2)
	v_add_co_ci_u32_e32 v25, vcc_lo, v19, v25, vcc_lo
	v_cmp_gt_i32_e32 vcc_lo, s23, v22
	v_dual_cndmask_b32 v25, v25, v26 :: v_dual_cndmask_b32 v24, v24, v13
	global_load_b32 v13, v[24:25], off
.LBB23_33:
	s_or_b32 exec_lo, exec_lo, s0
	v_add_nc_u32_e32 v22, 0xe00, v16
	s_mov_b32 s0, exec_lo
	s_delay_alu instid0(VALU_DEP_1)
	v_cmpx_lt_i32_e64 v22, v23
	s_cbranch_execz .LBB23_35
; %bb.34:
	v_subrev_nc_u32_e32 v24, s23, v22
	v_lshlrev_b32_e32 v14, 2, v22
	s_delay_alu instid0(VALU_DEP_2) | instskip(NEXT) | instid1(VALU_DEP_2)
	v_ashrrev_i32_e32 v25, 31, v24
	v_add_co_u32 v14, vcc_lo, v20, v14
	v_add_co_ci_u32_e32 v26, vcc_lo, 0, v21, vcc_lo
	s_delay_alu instid0(VALU_DEP_3) | instskip(NEXT) | instid1(VALU_DEP_1)
	v_lshlrev_b64 v[24:25], 2, v[24:25]
	v_add_co_u32 v24, vcc_lo, v18, v24
	s_delay_alu instid0(VALU_DEP_2) | instskip(SKIP_1) | instid1(VALU_DEP_2)
	v_add_co_ci_u32_e32 v25, vcc_lo, v19, v25, vcc_lo
	v_cmp_gt_i32_e32 vcc_lo, s23, v22
	v_cndmask_b32_e32 v25, v25, v26, vcc_lo
	s_delay_alu instid0(VALU_DEP_4)
	v_cndmask_b32_e32 v24, v24, v14, vcc_lo
	global_load_b32 v14, v[24:25], off
.LBB23_35:
	s_or_b32 exec_lo, exec_lo, s0
	v_add_nc_u32_e32 v22, 0xf00, v16
	s_mov_b32 s0, exec_lo
	s_delay_alu instid0(VALU_DEP_1)
	v_cmpx_lt_i32_e64 v22, v23
	s_cbranch_execz .LBB23_37
; %bb.36:
	v_subrev_nc_u32_e32 v24, s23, v22
	v_lshlrev_b32_e32 v15, 2, v22
	s_delay_alu instid0(VALU_DEP_2) | instskip(NEXT) | instid1(VALU_DEP_2)
	v_ashrrev_i32_e32 v25, 31, v24
	v_add_co_u32 v15, vcc_lo, v20, v15
	v_add_co_ci_u32_e32 v26, vcc_lo, 0, v21, vcc_lo
	s_delay_alu instid0(VALU_DEP_3) | instskip(NEXT) | instid1(VALU_DEP_1)
	v_lshlrev_b64 v[24:25], 2, v[24:25]
	v_add_co_u32 v24, vcc_lo, v18, v24
	s_delay_alu instid0(VALU_DEP_2) | instskip(SKIP_1) | instid1(VALU_DEP_2)
	v_add_co_ci_u32_e32 v25, vcc_lo, v19, v25, vcc_lo
	v_cmp_gt_i32_e32 vcc_lo, s23, v22
	v_dual_cndmask_b32 v25, v25, v26 :: v_dual_cndmask_b32 v24, v24, v15
	global_load_b32 v15, v[24:25], off
.LBB23_37:
	s_or_b32 exec_lo, exec_lo, s0
	v_lshlrev_b32_e32 v24, 4, v16
	v_lshlrev_b32_e32 v22, 2, v16
	s_lshl_b32 s0, s23, 2
	s_mov_b32 s2, 0
	s_addk_i32 s0, 0x4800
	v_min_i32_e32 v23, v23, v24
	s_waitcnt vmcnt(0)
	ds_store_2addr_stride64_b32 v22, v0, v1 offset0:76 offset1:80
	ds_store_2addr_stride64_b32 v22, v2, v3 offset0:84 offset1:88
	s_mov_b32 s1, exec_lo
	ds_store_2addr_stride64_b32 v22, v4, v5 offset0:92 offset1:96
	ds_store_2addr_stride64_b32 v22, v6, v7 offset0:100 offset1:104
	;; [unrolled: 1-line block ×6, first 2 shown]
	v_sub_nc_u32_e32 v0, v23, v17
	v_min_i32_e32 v1, s23, v23
	s_waitcnt lgkmcnt(0)
	s_barrier
	buffer_gl0_inv
	v_max_i32_e32 v0, 0, v0
	s_delay_alu instid0(VALU_DEP_1)
	v_cmpx_lt_i32_e64 v0, v1
	s_cbranch_execz .LBB23_41
; %bb.38:
	v_lshlrev_b32_e32 v2, 2, v23
	s_delay_alu instid0(VALU_DEP_1)
	v_add3_u32 v2, s0, v2, 0x400
	.p2align	6
.LBB23_39:                              ; =>This Inner Loop Header: Depth=1
	v_add_nc_u32_e32 v3, v1, v0
	s_delay_alu instid0(VALU_DEP_1) | instskip(NEXT) | instid1(VALU_DEP_1)
	v_ashrrev_i32_e32 v3, 1, v3
	v_not_b32_e32 v4, v3
	v_add_nc_u32_e32 v6, 1, v3
	v_lshlrev_b32_e32 v5, 2, v3
	s_delay_alu instid0(VALU_DEP_3)
	v_lshl_add_u32 v4, v4, 2, v2
	ds_load_b32 v5, v5 offset:19456
	ds_load_b32 v4, v4
	s_waitcnt lgkmcnt(0)
	v_cmp_lt_i32_e32 vcc_lo, v4, v5
	v_dual_cndmask_b32 v0, v6, v0 :: v_dual_cndmask_b32 v1, v1, v3
	s_delay_alu instid0(VALU_DEP_1) | instskip(SKIP_1) | instid1(SALU_CYCLE_1)
	v_cmp_ge_i32_e32 vcc_lo, v0, v1
	s_or_b32 s2, vcc_lo, s2
	s_and_not1_b32 exec_lo, exec_lo, s2
	s_cbranch_execnz .LBB23_39
; %bb.40:
	s_or_b32 exec_lo, exec_lo, s2
.LBB23_41:
	s_delay_alu instid0(SALU_CYCLE_1) | instskip(SKIP_3) | instid1(VALU_DEP_1)
	s_or_b32 exec_lo, exec_lo, s1
	v_dual_mov_b32 v2, 0 :: v_dual_add_nc_u32 v15, 0x4800, v22
	v_sub_nc_u32_e32 v3, v23, v0
	s_mov_b32 s1, exec_lo
	v_cmpx_lt_i32_e64 v3, v17
	s_cbranch_execz .LBB23_71
; %bb.42:
	v_lshl_add_u32 v4, v3, 2, s0
	v_mov_b32_e32 v1, 0
	v_mov_b32_e32 v5, v0
	s_mov_b32 s2, exec_lo
	ds_load_b32 v2, v4 offset:1024
	v_cmpx_lt_i32_e32 0, v0
	s_cbranch_execnz .LBB23_47
; %bb.43:
	s_or_b32 exec_lo, exec_lo, s2
	s_delay_alu instid0(SALU_CYCLE_1)
	s_mov_b32 s2, exec_lo
	v_cmpx_lt_i32_e64 v1, v5
	s_cbranch_execnz .LBB23_48
.LBB23_44:
	s_or_b32 exec_lo, exec_lo, s2
	s_delay_alu instid0(SALU_CYCLE_1)
	s_mov_b32 s2, exec_lo
	v_cmpx_lt_i32_e64 v1, v5
	s_cbranch_execnz .LBB23_49
.LBB23_45:
	s_or_b32 exec_lo, exec_lo, s2
	s_delay_alu instid0(SALU_CYCLE_1)
	s_mov_b32 s2, exec_lo
	v_cmpx_lt_i32_e64 v1, v5
	s_cbranch_execnz .LBB23_50
.LBB23_46:
	s_or_b32 exec_lo, exec_lo, s2
	s_delay_alu instid0(SALU_CYCLE_1)
	s_mov_b32 s2, exec_lo
	v_cmpx_lt_i32_e64 v1, v5
	s_cbranch_execnz .LBB23_51
	s_branch .LBB23_54
.LBB23_47:
	v_mul_lo_u32 v1, 0x1ff, v0
	s_delay_alu instid0(VALU_DEP_1) | instskip(NEXT) | instid1(VALU_DEP_1)
	v_ashrrev_i32_e32 v5, 9, v1
	v_lshlrev_b32_e32 v1, 2, v5
	ds_load_b32 v1, v1 offset:19456
	s_waitcnt lgkmcnt(0)
	v_cmp_lt_i32_e32 vcc_lo, v1, v2
	v_dual_cndmask_b32 v5, v5, v0 :: v_dual_add_nc_u32 v6, 1, v5
	s_delay_alu instid0(VALU_DEP_1) | instskip(SKIP_1) | instid1(SALU_CYCLE_1)
	v_cndmask_b32_e32 v1, 0, v6, vcc_lo
	s_or_b32 exec_lo, exec_lo, s2
	s_mov_b32 s2, exec_lo
	s_delay_alu instid0(VALU_DEP_1)
	v_cmpx_lt_i32_e64 v1, v5
	s_cbranch_execz .LBB23_44
.LBB23_48:
	v_sub_nc_u32_e32 v6, v1, v5
	s_delay_alu instid0(VALU_DEP_1) | instskip(NEXT) | instid1(VALU_DEP_1)
	v_lshl_add_u32 v6, v5, 7, v6
	v_ashrrev_i32_e32 v6, 7, v6
	s_delay_alu instid0(VALU_DEP_1) | instskip(SKIP_4) | instid1(VALU_DEP_1)
	v_lshlrev_b32_e32 v7, 2, v6
	ds_load_b32 v7, v7 offset:19456
	s_waitcnt lgkmcnt(0)
	v_cmp_lt_i32_e32 vcc_lo, v7, v2
	v_dual_cndmask_b32 v5, v6, v5 :: v_dual_add_nc_u32 v8, 1, v6
	v_cndmask_b32_e32 v1, v1, v8, vcc_lo
	s_or_b32 exec_lo, exec_lo, s2
	s_delay_alu instid0(SALU_CYCLE_1) | instskip(NEXT) | instid1(VALU_DEP_1)
	s_mov_b32 s2, exec_lo
	v_cmpx_lt_i32_e64 v1, v5
	s_cbranch_execz .LBB23_45
.LBB23_49:
	v_sub_nc_u32_e32 v6, v1, v5
	s_delay_alu instid0(VALU_DEP_1) | instskip(NEXT) | instid1(VALU_DEP_1)
	v_lshl_add_u32 v6, v5, 5, v6
	v_ashrrev_i32_e32 v6, 5, v6
	s_delay_alu instid0(VALU_DEP_1) | instskip(SKIP_4) | instid1(VALU_DEP_1)
	v_lshlrev_b32_e32 v7, 2, v6
	ds_load_b32 v7, v7 offset:19456
	s_waitcnt lgkmcnt(0)
	v_cmp_lt_i32_e32 vcc_lo, v7, v2
	v_dual_cndmask_b32 v5, v6, v5 :: v_dual_add_nc_u32 v8, 1, v6
	v_cndmask_b32_e32 v1, v1, v8, vcc_lo
	s_or_b32 exec_lo, exec_lo, s2
	s_delay_alu instid0(SALU_CYCLE_1) | instskip(NEXT) | instid1(VALU_DEP_1)
	s_mov_b32 s2, exec_lo
	v_cmpx_lt_i32_e64 v1, v5
	s_cbranch_execz .LBB23_46
.LBB23_50:
	v_sub_nc_u32_e32 v6, v1, v5
	s_delay_alu instid0(VALU_DEP_1) | instskip(NEXT) | instid1(VALU_DEP_1)
	v_lshl_add_u32 v6, v5, 4, v6
	v_ashrrev_i32_e32 v6, 4, v6
	s_delay_alu instid0(VALU_DEP_1) | instskip(SKIP_4) | instid1(VALU_DEP_1)
	v_lshlrev_b32_e32 v7, 2, v6
	ds_load_b32 v7, v7 offset:19456
	s_waitcnt lgkmcnt(0)
	v_cmp_lt_i32_e32 vcc_lo, v7, v2
	v_dual_cndmask_b32 v5, v6, v5 :: v_dual_add_nc_u32 v8, 1, v6
	v_cndmask_b32_e32 v1, v1, v8, vcc_lo
	s_or_b32 exec_lo, exec_lo, s2
	s_delay_alu instid0(SALU_CYCLE_1) | instskip(NEXT) | instid1(VALU_DEP_1)
	s_mov_b32 s2, exec_lo
	v_cmpx_lt_i32_e64 v1, v5
	s_cbranch_execz .LBB23_54
.LBB23_51:
	s_mov_b32 s3, 0
.LBB23_52:                              ; =>This Inner Loop Header: Depth=1
	v_sub_nc_u32_e32 v6, v1, v5
	s_delay_alu instid0(VALU_DEP_1) | instskip(NEXT) | instid1(VALU_DEP_1)
	v_lshl_add_u32 v6, v5, 1, v6
	v_ashrrev_i32_e32 v6, 1, v6
	s_delay_alu instid0(VALU_DEP_1) | instskip(SKIP_4) | instid1(VALU_DEP_1)
	v_lshlrev_b32_e32 v7, 2, v6
	ds_load_b32 v7, v7 offset:19456
	s_waitcnt lgkmcnt(0)
	v_cmp_lt_i32_e32 vcc_lo, v7, v2
	v_dual_cndmask_b32 v5, v6, v5 :: v_dual_add_nc_u32 v8, 1, v6
	v_cndmask_b32_e32 v1, v1, v8, vcc_lo
	s_delay_alu instid0(VALU_DEP_1) | instskip(SKIP_1) | instid1(SALU_CYCLE_1)
	v_cmp_ge_i32_e32 vcc_lo, v1, v5
	s_or_b32 s3, vcc_lo, s3
	s_and_not1_b32 exec_lo, exec_lo, s3
	s_cbranch_execnz .LBB23_52
; %bb.53:
	s_or_b32 exec_lo, exec_lo, s3
.LBB23_54:
	s_delay_alu instid0(SALU_CYCLE_1)
	s_or_b32 exec_lo, exec_lo, s2
	v_dual_mov_b32 v5, 0 :: v_dual_add_nc_u32 v4, 0x400, v4
	v_mov_b32_e32 v6, v3
	s_mov_b32 s2, exec_lo
	v_cmpx_lt_i32_e32 0, v3
	s_cbranch_execnz .LBB23_59
; %bb.55:
	s_or_b32 exec_lo, exec_lo, s2
	s_delay_alu instid0(SALU_CYCLE_1)
	s_mov_b32 s2, exec_lo
	v_cmpx_lt_i32_e64 v5, v6
	s_cbranch_execnz .LBB23_60
.LBB23_56:
	s_or_b32 exec_lo, exec_lo, s2
	s_delay_alu instid0(SALU_CYCLE_1)
	s_mov_b32 s2, exec_lo
	v_cmpx_lt_i32_e64 v5, v6
	s_cbranch_execnz .LBB23_61
.LBB23_57:
	s_or_b32 exec_lo, exec_lo, s2
	s_delay_alu instid0(SALU_CYCLE_1)
	s_mov_b32 s2, exec_lo
	v_cmpx_lt_i32_e64 v5, v6
	s_cbranch_execnz .LBB23_62
.LBB23_58:
	s_or_b32 exec_lo, exec_lo, s2
	s_delay_alu instid0(SALU_CYCLE_1)
	s_mov_b32 s2, exec_lo
	v_cmpx_lt_i32_e64 v5, v6
	s_cbranch_execnz .LBB23_63
	s_branch .LBB23_66
.LBB23_59:
	v_mul_lo_u32 v5, 0x1ff, v3
	s_delay_alu instid0(VALU_DEP_1) | instskip(NEXT) | instid1(VALU_DEP_1)
	v_ashrrev_i32_e32 v6, 9, v5
	v_lshl_add_u32 v5, v6, 2, s0
	ds_load_b32 v5, v5 offset:1024
	s_waitcnt lgkmcnt(0)
	v_cmp_lt_i32_e32 vcc_lo, v5, v2
	v_dual_cndmask_b32 v6, v6, v3 :: v_dual_add_nc_u32 v7, 1, v6
	s_delay_alu instid0(VALU_DEP_1) | instskip(SKIP_1) | instid1(SALU_CYCLE_1)
	v_cndmask_b32_e32 v5, 0, v7, vcc_lo
	s_or_b32 exec_lo, exec_lo, s2
	s_mov_b32 s2, exec_lo
	s_delay_alu instid0(VALU_DEP_1)
	v_cmpx_lt_i32_e64 v5, v6
	s_cbranch_execz .LBB23_56
.LBB23_60:
	v_sub_nc_u32_e32 v7, v5, v6
	s_delay_alu instid0(VALU_DEP_1) | instskip(NEXT) | instid1(VALU_DEP_1)
	v_lshl_add_u32 v7, v6, 7, v7
	v_ashrrev_i32_e32 v7, 7, v7
	s_delay_alu instid0(VALU_DEP_1) | instskip(SKIP_4) | instid1(VALU_DEP_1)
	v_lshl_add_u32 v8, v7, 2, s0
	ds_load_b32 v8, v8 offset:1024
	s_waitcnt lgkmcnt(0)
	v_cmp_lt_i32_e32 vcc_lo, v8, v2
	v_dual_cndmask_b32 v6, v7, v6 :: v_dual_add_nc_u32 v9, 1, v7
	v_cndmask_b32_e32 v5, v5, v9, vcc_lo
	s_or_b32 exec_lo, exec_lo, s2
	s_delay_alu instid0(SALU_CYCLE_1) | instskip(NEXT) | instid1(VALU_DEP_1)
	s_mov_b32 s2, exec_lo
	v_cmpx_lt_i32_e64 v5, v6
	s_cbranch_execz .LBB23_57
.LBB23_61:
	v_sub_nc_u32_e32 v7, v5, v6
	s_delay_alu instid0(VALU_DEP_1) | instskip(NEXT) | instid1(VALU_DEP_1)
	v_lshl_add_u32 v7, v6, 5, v7
	v_ashrrev_i32_e32 v7, 5, v7
	s_delay_alu instid0(VALU_DEP_1) | instskip(SKIP_4) | instid1(VALU_DEP_1)
	v_lshl_add_u32 v8, v7, 2, s0
	ds_load_b32 v8, v8 offset:1024
	s_waitcnt lgkmcnt(0)
	v_cmp_lt_i32_e32 vcc_lo, v8, v2
	v_dual_cndmask_b32 v6, v7, v6 :: v_dual_add_nc_u32 v9, 1, v7
	v_cndmask_b32_e32 v5, v5, v9, vcc_lo
	s_or_b32 exec_lo, exec_lo, s2
	s_delay_alu instid0(SALU_CYCLE_1) | instskip(NEXT) | instid1(VALU_DEP_1)
	s_mov_b32 s2, exec_lo
	v_cmpx_lt_i32_e64 v5, v6
	s_cbranch_execz .LBB23_58
.LBB23_62:
	v_sub_nc_u32_e32 v7, v5, v6
	s_delay_alu instid0(VALU_DEP_1) | instskip(NEXT) | instid1(VALU_DEP_1)
	v_lshl_add_u32 v7, v6, 4, v7
	v_ashrrev_i32_e32 v7, 4, v7
	s_delay_alu instid0(VALU_DEP_1) | instskip(SKIP_4) | instid1(VALU_DEP_1)
	v_lshl_add_u32 v8, v7, 2, s0
	ds_load_b32 v8, v8 offset:1024
	s_waitcnt lgkmcnt(0)
	v_cmp_lt_i32_e32 vcc_lo, v8, v2
	v_dual_cndmask_b32 v6, v7, v6 :: v_dual_add_nc_u32 v9, 1, v7
	v_cndmask_b32_e32 v5, v5, v9, vcc_lo
	s_or_b32 exec_lo, exec_lo, s2
	s_delay_alu instid0(SALU_CYCLE_1) | instskip(NEXT) | instid1(VALU_DEP_1)
	s_mov_b32 s2, exec_lo
	v_cmpx_lt_i32_e64 v5, v6
	s_cbranch_execz .LBB23_66
.LBB23_63:
	s_add_i32 s3, s0, 0x400
	s_mov_b32 s0, 0
.LBB23_64:                              ; =>This Inner Loop Header: Depth=1
	v_sub_nc_u32_e32 v7, v5, v6
	s_delay_alu instid0(VALU_DEP_1) | instskip(NEXT) | instid1(VALU_DEP_1)
	v_lshl_add_u32 v7, v6, 1, v7
	v_ashrrev_i32_e32 v7, 1, v7
	s_delay_alu instid0(VALU_DEP_1) | instskip(SKIP_4) | instid1(VALU_DEP_1)
	v_lshl_add_u32 v8, v7, 2, s3
	ds_load_b32 v8, v8
	s_waitcnt lgkmcnt(0)
	v_cmp_lt_i32_e32 vcc_lo, v8, v2
	v_dual_cndmask_b32 v6, v7, v6 :: v_dual_add_nc_u32 v9, 1, v7
	v_cndmask_b32_e32 v5, v5, v9, vcc_lo
	s_delay_alu instid0(VALU_DEP_1) | instskip(SKIP_1) | instid1(SALU_CYCLE_1)
	v_cmp_ge_i32_e32 vcc_lo, v5, v6
	s_or_b32 s0, vcc_lo, s0
	s_and_not1_b32 exec_lo, exec_lo, s0
	s_cbranch_execnz .LBB23_64
; %bb.65:
	s_or_b32 exec_lo, exec_lo, s0
.LBB23_66:
	s_delay_alu instid0(SALU_CYCLE_1) | instskip(SKIP_4) | instid1(VALU_DEP_1)
	s_or_b32 exec_lo, exec_lo, s2
	v_sub_nc_u32_e32 v0, v0, v1
	v_sub_nc_u32_e32 v7, v3, v5
	s_mov_b32 s2, 0
	s_mov_b32 s0, exec_lo
	v_add_nc_u32_e32 v6, v7, v0
	s_delay_alu instid0(VALU_DEP_1) | instskip(NEXT) | instid1(VALU_DEP_1)
	v_ashrrev_i32_e32 v0, 1, v6
	v_max_i32_e32 v0, v0, v7
	s_delay_alu instid0(VALU_DEP_1) | instskip(NEXT) | instid1(VALU_DEP_1)
	v_add3_u32 v5, v5, v0, 1
	v_min_i32_e32 v5, v5, v17
	s_delay_alu instid0(VALU_DEP_1) | instskip(SKIP_1) | instid1(VALU_DEP_2)
	v_sub_nc_u32_e32 v5, v5, v3
	v_mov_b32_e32 v3, 0
	v_cmpx_lt_i32_e32 0, v5
	s_cbranch_execz .LBB23_70
; %bb.67:
	v_mov_b32_e32 v3, 0
.LBB23_68:                              ; =>This Inner Loop Header: Depth=1
	s_delay_alu instid0(VALU_DEP_1) | instskip(NEXT) | instid1(VALU_DEP_1)
	v_add_nc_u32_e32 v8, v3, v5
	v_ashrrev_i32_e32 v8, 1, v8
	s_delay_alu instid0(VALU_DEP_1)
	v_lshl_add_u32 v9, v8, 2, v4
	v_add_nc_u32_e32 v10, 1, v8
	ds_load_b32 v9, v9
	s_waitcnt lgkmcnt(0)
	v_cmp_gt_i32_e32 vcc_lo, v9, v2
	v_cndmask_b32_e32 v3, v10, v3, vcc_lo
	v_cndmask_b32_e32 v5, v5, v8, vcc_lo
	s_delay_alu instid0(VALU_DEP_1) | instskip(SKIP_1) | instid1(SALU_CYCLE_1)
	v_cmp_ge_i32_e32 vcc_lo, v3, v5
	s_or_b32 s2, vcc_lo, s2
	s_and_not1_b32 exec_lo, exec_lo, s2
	s_cbranch_execnz .LBB23_68
; %bb.69:
	s_or_b32 exec_lo, exec_lo, s2
.LBB23_70:
	s_delay_alu instid0(SALU_CYCLE_1) | instskip(SKIP_2) | instid1(VALU_DEP_1)
	s_or_b32 exec_lo, exec_lo, s0
	s_waitcnt lgkmcnt(0)
	v_add_nc_u32_e32 v2, v3, v7
	v_min_i32_e32 v3, v2, v0
	v_cmp_lt_i32_e32 vcc_lo, v0, v2
	s_delay_alu instid0(VALU_DEP_2) | instskip(SKIP_1) | instid1(VALU_DEP_2)
	v_sub_nc_u32_e32 v4, v6, v3
	v_add_nc_u32_e32 v3, 1, v3
	v_add_nc_u32_e32 v0, v4, v1
	s_delay_alu instid0(VALU_DEP_2) | instskip(NEXT) | instid1(VALU_DEP_1)
	v_cmp_eq_u32_e64 s0, v4, v3
	s_and_b32 s0, vcc_lo, s0
	s_delay_alu instid0(SALU_CYCLE_1)
	v_cndmask_b32_e64 v2, 0, 1, s0
.LBB23_71:
	s_or_b32 exec_lo, exec_lo, s1
	s_delay_alu instid0(VALU_DEP_1)
	v_add_nc_u32_e32 v1, v2, v23
	s_lshl_b32 s0, s23, 16
	v_add_nc_u32_e32 v2, -1, v16
	v_or_b32_e32 v3, s0, v17
	v_cmp_eq_u32_e64 s0, 0, v16
	v_sub_nc_u32_e32 v1, v1, v0
	v_lshlrev_b32_e32 v5, 2, v0
	s_mov_b32 s1, exec_lo
	s_delay_alu instid0(VALU_DEP_2) | instskip(NEXT) | instid1(VALU_DEP_1)
	v_lshl_or_b32 v4, v0, 16, v1
	v_cndmask_b32_e64 v3, v4, v3, s0
	v_cndmask_b32_e64 v4, v2, 0xff, s0
	v_add_nc_u32_e32 v2, s23, v1
	s_delay_alu instid0(VALU_DEP_2) | instskip(NEXT) | instid1(VALU_DEP_2)
	v_lshlrev_b32_e32 v4, 2, v4
	v_lshlrev_b32_e32 v6, 2, v2
	ds_store_b32 v4, v3 offset:18432
	s_waitcnt lgkmcnt(0)
	s_barrier
	buffer_gl0_inv
	ds_load_b32 v24, v5 offset:19456
	ds_load_b32 v3, v6 offset:19456
	ds_load_b32 v11, v15
	v_mov_b32_e32 v4, v0
	s_waitcnt lgkmcnt(2)
	v_mov_b32_e32 v23, v24
	s_waitcnt lgkmcnt(1)
	v_cmpx_ge_i32_e64 v3, v24
	s_cbranch_execz .LBB23_73
; %bb.72:
	ds_load_b32 v23, v5 offset:19460
	v_add_nc_u32_e32 v4, 1, v0
.LBB23_73:
	s_or_b32 exec_lo, exec_lo, s1
	v_mov_b32_e32 v5, v3
	s_mov_b32 s1, exec_lo
	v_cmpx_ge_i32_e64 v24, v3
	s_cbranch_execz .LBB23_75
; %bb.74:
	ds_load_b32 v5, v6 offset:19460
	v_add_nc_u32_e32 v2, 1, v2
.LBB23_75:
	s_or_b32 exec_lo, exec_lo, s1
	s_waitcnt lgkmcnt(0)
	v_dual_mov_b32 v25, v23 :: v_dual_mov_b32 v6, v4
	s_mov_b32 s1, exec_lo
	v_cmpx_ge_i32_e64 v5, v23
	s_cbranch_execz .LBB23_77
; %bb.76:
	v_lshlrev_b32_e32 v6, 2, v4
	ds_load_b32 v25, v6 offset:19460
	v_add_nc_u32_e32 v6, 1, v4
.LBB23_77:
	s_or_b32 exec_lo, exec_lo, s1
	v_dual_mov_b32 v7, v5 :: v_dual_mov_b32 v8, v2
	s_mov_b32 s1, exec_lo
	v_cmpx_ge_i32_e64 v23, v5
	s_cbranch_execz .LBB23_79
; %bb.78:
	v_lshlrev_b32_e32 v7, 2, v2
	v_add_nc_u32_e32 v8, 1, v2
	ds_load_b32 v7, v7 offset:19460
.LBB23_79:
	s_or_b32 exec_lo, exec_lo, s1
	s_waitcnt lgkmcnt(0)
	v_dual_mov_b32 v26, v25 :: v_dual_mov_b32 v9, v6
	s_mov_b32 s1, exec_lo
	v_cmpx_ge_i32_e64 v7, v25
	s_cbranch_execz .LBB23_81
; %bb.80:
	v_lshlrev_b32_e32 v9, 2, v6
	ds_load_b32 v26, v9 offset:19460
	v_add_nc_u32_e32 v9, 1, v6
.LBB23_81:
	s_or_b32 exec_lo, exec_lo, s1
	v_mov_b32_e32 v10, v7
	v_mov_b32_e32 v12, v8
	s_mov_b32 s1, exec_lo
	v_cmpx_ge_i32_e64 v25, v7
	s_cbranch_execz .LBB23_83
; %bb.82:
	v_lshlrev_b32_e32 v10, 2, v8
	v_add_nc_u32_e32 v12, 1, v8
	ds_load_b32 v10, v10 offset:19460
.LBB23_83:
	s_or_b32 exec_lo, exec_lo, s1
	s_waitcnt lgkmcnt(0)
	v_mov_b32_e32 v27, v26
	v_mov_b32_e32 v13, v9
	s_mov_b32 s1, exec_lo
	v_cmpx_ge_i32_e64 v10, v26
	s_cbranch_execz .LBB23_85
; %bb.84:
	v_lshlrev_b32_e32 v13, 2, v9
	ds_load_b32 v27, v13 offset:19460
	v_add_nc_u32_e32 v13, 1, v9
.LBB23_85:
	s_or_b32 exec_lo, exec_lo, s1
	v_dual_mov_b32 v14, v10 :: v_dual_mov_b32 v39, v12
	s_mov_b32 s1, exec_lo
	v_cmpx_ge_i32_e64 v26, v10
	s_cbranch_execz .LBB23_87
; %bb.86:
	v_lshlrev_b32_e32 v14, 2, v12
	v_add_nc_u32_e32 v39, 1, v12
	ds_load_b32 v14, v14 offset:19460
.LBB23_87:
	s_or_b32 exec_lo, exec_lo, s1
	s_waitcnt lgkmcnt(0)
	v_mov_b32_e32 v28, v27
	v_mov_b32_e32 v40, v13
	s_mov_b32 s1, exec_lo
	v_cmpx_ge_i32_e64 v14, v27
	s_cbranch_execz .LBB23_89
; %bb.88:
	v_lshlrev_b32_e32 v28, 2, v13
	v_add_nc_u32_e32 v40, 1, v13
	ds_load_b32 v28, v28 offset:19460
.LBB23_89:
	s_or_b32 exec_lo, exec_lo, s1
	v_dual_mov_b32 v41, v14 :: v_dual_mov_b32 v42, v39
	s_mov_b32 s1, exec_lo
	v_cmpx_ge_i32_e64 v27, v14
	s_cbranch_execz .LBB23_91
; %bb.90:
	v_lshlrev_b32_e32 v29, 2, v39
	v_add_nc_u32_e32 v42, 1, v39
	ds_load_b32 v41, v29 offset:19460
.LBB23_91:
	s_or_b32 exec_lo, exec_lo, s1
	s_waitcnt lgkmcnt(0)
	v_mov_b32_e32 v29, v28
	v_mov_b32_e32 v43, v40
	s_mov_b32 s1, exec_lo
	v_cmpx_ge_i32_e64 v41, v28
	s_cbranch_execz .LBB23_93
; %bb.92:
	v_lshlrev_b32_e32 v29, 2, v40
	v_add_nc_u32_e32 v43, 1, v40
	ds_load_b32 v29, v29 offset:19460
.LBB23_93:
	;; [unrolled: 22-line block ×11, first 2 shown]
	s_or_b32 exec_lo, exec_lo, s1
	v_dual_mov_b32 v72, v69 :: v_dual_mov_b32 v71, v68
	s_mov_b32 s1, exec_lo
	v_cmpx_ge_i32_e64 v37, v69
	s_cbranch_execz .LBB23_131
; %bb.130:
	v_lshlrev_b32_e32 v71, 2, v68
	ds_load_b32 v72, v71 offset:19460
	v_add_nc_u32_e32 v71, 1, v68
.LBB23_131:
	s_or_b32 exec_lo, exec_lo, s1
	v_and_b32_e32 v73, 0xffff, v11
	v_ashrrev_i32_e32 v11, 16, v11
	v_cmp_ne_u32_e64 s1, v69, v37
	v_cmp_ne_u32_e64 s17, v44, v29
	v_cmp_ne_u32_e64 s2, v66, v36
	v_add_nc_u32_e32 v69, s23, v73
	v_cmp_ge_i32_e64 s14, v40, v11
	v_cmp_ge_i32_e64 s18, v9, v11
	v_cmp_ge_i32_e64 s20, v6, v11
	v_cmp_gt_i32_e64 s22, v73, v1
	v_cmp_ge_i32_e64 s15, v42, v69
	v_cmp_ge_i32_e64 s19, v12, v69
	;; [unrolled: 1-line block ×5, first 2 shown]
	s_or_b32 s41, s14, s15
	v_cmp_ge_i32_e64 s14, v13, v11
	v_cmp_ge_i32_e64 s15, v39, v69
	s_or_b32 s43, s18, s19
	s_or_b32 s31, s20, s21
	v_cmp_ge_i32_e64 s19, v4, v11
	v_cmp_ge_i32_e64 s20, v2, v69
	s_or_b32 s42, s14, s15
	v_cmp_ne_u32_e64 s15, v7, v25
	v_cmp_gt_i32_e64 s21, v11, v0
	v_cmp_ne_u32_e64 s18, v5, v23
	s_or_b32 s19, s19, s20
	v_cmp_ge_i32_e64 s4, v67, v11
	s_or_b32 s31, s15, s31
	v_cmp_eq_u32_e64 s15, v3, v24
	s_and_b32 s20, s21, s22
	v_cmp_ge_i32_e64 s5, v64, v11
	v_cmp_ge_i32_e64 s7, v68, v69
	;; [unrolled: 1-line block ×5, first 2 shown]
	s_or_b32 s40, s12, s13
	v_cmp_ne_u32_e64 s13, v14, v27
	v_cmp_ne_u32_e64 s14, v10, v26
	s_or_b32 s18, s18, s19
	s_and_b32 s15, s20, s15
	v_cndmask_b32_e64 v0, 4, 0, s31
	v_cndmask_b32_e64 v1, 2, 0, s18
	;; [unrolled: 1-line block ×3, first 2 shown]
	v_cmp_ge_i32_e64 s3, v70, v11
	v_cmp_ge_i32_e64 s6, v71, v69
	s_or_b32 s34, s4, s7
	s_or_b32 s35, s5, s8
	;; [unrolled: 1-line block ×3, first 2 shown]
	v_cmp_ge_i32_e64 s7, v55, v11
	v_cmp_ge_i32_e64 s8, v57, v69
	v_cmp_ge_i32_e64 s9, v52, v11
	v_cmp_ge_i32_e64 s10, v54, v69
	v_cmp_ne_u32_e64 s12, v41, v28
	s_or_b32 s13, s13, s42
	s_or_b32 s14, s14, s43
	v_cndmask_b32_e64 v3, 16, 0, s13
	v_cndmask_b32_e64 v4, 8, 0, s14
	v_or3_b32 v0, v1, v2, v0
	s_or_b32 s33, s3, s6
	v_cmp_ge_i32_e64 s5, v58, v11
	v_cmp_ge_i32_e64 s6, v60, v69
	;; [unrolled: 1-line block ×4, first 2 shown]
	s_or_b32 s38, s7, s8
	s_or_b32 s39, s9, s10
	v_cmp_ge_i32_e64 s8, v49, v11
	v_cmp_ge_i32_e64 s9, v51, v69
	v_cmp_ne_u32_e64 s10, v48, v30
	s_or_b32 s17, s17, s40
	s_or_b32 s12, s12, s41
	v_cndmask_b32_e64 v1, 64, 0, s17
	v_cndmask_b32_e64 v2, 32, 0, s12
	v_or3_b32 v0, v0, v4, v3
	s_or_b32 s37, s5, s6
	v_cmp_ne_u32_e64 s6, v53, v32
	s_or_b32 s11, s11, s16
	v_cmp_ne_u32_e64 s7, v50, v31
	s_or_b32 s8, s8, s9
	s_or_b32 s9, s10, s11
	v_or3_b32 v44, v0, v2, v1
	v_cndmask_b32_e64 v3, 0x80, 0, s9
	v_cmp_ne_u32_e64 s4, v59, v34
	s_or_b32 s6, s6, s39
	v_cmp_ne_u32_e64 s5, v56, v33
	v_cndmask_b32_e64 v0, 0x200, 0, s6
	s_or_b32 s6, s7, s8
	v_or_b32_e32 v43, v3, v44
	v_cndmask_b32_e64 v1, 0x100, 0, s6
	s_or_b32 s4, s4, s37
	v_cmp_ne_u32_e64 s3, v62, v35
	v_cndmask_b32_e64 v2, 0x800, 0, s4
	s_or_b32 s4, s5, s38
	v_or3_b32 v42, v1, v0, v43
	v_cndmask_b32_e64 v3, 0x400, 0, s4
	s_or_b32 s2, s2, s35
	s_waitcnt lgkmcnt(0)
	v_cmp_ne_u32_e32 vcc_lo, v72, v38
	v_cndmask_b32_e64 v0, 0x2000, 0, s2
	s_or_b32 s2, s3, s36
	v_or3_b32 v41, v3, v2, v42
	v_cndmask_b32_e64 v1, 0x1000, 0, s2
	s_or_b32 s2, vcc_lo, s33
	s_or_b32 s1, s1, s34
	v_cndmask_b32_e64 v2, 0x8000, 0, s2
	v_cndmask_b32_e64 v3, 0x4000, 0, s1
	v_or3_b32 v40, v1, v0, v41
	v_mov_b32_e32 v9, 0
	s_mov_b32 s1, -1
	s_cmp_lg_u32 s30, 0
	s_delay_alu instid0(VALU_DEP_2)
	v_or3_b32 v39, v3, v2, v40
	s_barrier
	buffer_gl0_inv
	v_bcnt_u32_b32 v8, v39, 0
	s_cbranch_scc0 .LBB23_193
; %bb.132:
	v_mbcnt_lo_u32_b32 v45, -1, 0
	s_delay_alu instid0(VALU_DEP_2)
	v_mov_b32_dpp v6, v8 row_shr:1 row_mask:0xf bank_mask:0xf
	v_mov_b32_dpp v5, v9 row_shr:1 row_mask:0xf bank_mask:0xf
	v_mov_b32_e32 v2, v9
	v_dual_mov_b32 v0, v8 :: v_dual_mov_b32 v1, v9
	v_dual_mov_b32 v3, v8 :: v_dual_and_b32 v4, 15, v45
	s_mov_b32 s1, exec_lo
	s_delay_alu instid0(VALU_DEP_1)
	v_cmpx_ne_u32_e32 0, v4
; %bb.133:
	v_add_co_u32 v3, s2, v6, v8
	s_delay_alu instid0(VALU_DEP_1) | instskip(NEXT) | instid1(VALU_DEP_2)
	v_add_co_ci_u32_e64 v0, null, 0, 0, s2
	v_add_co_u32 v1, vcc_lo, 0, v3
	s_delay_alu instid0(VALU_DEP_2) | instskip(NEXT) | instid1(VALU_DEP_2)
	v_add_co_ci_u32_e32 v2, vcc_lo, v5, v0, vcc_lo
	v_mov_b32_e32 v0, v1
	s_delay_alu instid0(VALU_DEP_2)
	v_mov_b32_e32 v1, v2
; %bb.134:
	s_or_b32 exec_lo, exec_lo, s1
	v_mov_b32_dpp v6, v3 row_shr:2 row_mask:0xf bank_mask:0xf
	v_mov_b32_dpp v5, v2 row_shr:2 row_mask:0xf bank_mask:0xf
	s_mov_b32 s1, exec_lo
	v_cmpx_lt_u32_e32 1, v4
; %bb.135:
	s_delay_alu instid0(VALU_DEP_3) | instskip(SKIP_1) | instid1(VALU_DEP_2)
	v_add_co_u32 v3, vcc_lo, v0, v6
	v_add_co_ci_u32_e32 v0, vcc_lo, 0, v1, vcc_lo
	v_add_co_u32 v1, vcc_lo, 0, v3
	s_delay_alu instid0(VALU_DEP_2) | instskip(NEXT) | instid1(VALU_DEP_2)
	v_add_co_ci_u32_e32 v2, vcc_lo, v5, v0, vcc_lo
	v_mov_b32_e32 v0, v1
	s_delay_alu instid0(VALU_DEP_2)
	v_mov_b32_e32 v1, v2
; %bb.136:
	s_or_b32 exec_lo, exec_lo, s1
	v_mov_b32_dpp v6, v3 row_shr:4 row_mask:0xf bank_mask:0xf
	v_mov_b32_dpp v5, v2 row_shr:4 row_mask:0xf bank_mask:0xf
	s_mov_b32 s1, exec_lo
	v_cmpx_lt_u32_e32 3, v4
; %bb.137:
	s_delay_alu instid0(VALU_DEP_3) | instskip(SKIP_1) | instid1(VALU_DEP_2)
	v_add_co_u32 v3, vcc_lo, v0, v6
	v_add_co_ci_u32_e32 v0, vcc_lo, 0, v1, vcc_lo
	;; [unrolled: 16-line block ×3, first 2 shown]
	v_add_co_u32 v0, vcc_lo, 0, v3
	s_delay_alu instid0(VALU_DEP_2) | instskip(NEXT) | instid1(VALU_DEP_1)
	v_add_co_ci_u32_e32 v1, vcc_lo, v5, v1, vcc_lo
	v_mov_b32_e32 v2, v1
; %bb.140:
	s_or_b32 exec_lo, exec_lo, s1
	ds_swizzle_b32 v4, v3 offset:swizzle(BROADCAST,32,15)
	ds_swizzle_b32 v2, v2 offset:swizzle(BROADCAST,32,15)
	v_and_b32_e32 v5, 16, v45
	s_mov_b32 s1, exec_lo
	s_delay_alu instid0(VALU_DEP_1)
	v_cmpx_ne_u32_e32 0, v5
	s_cbranch_execz .LBB23_142
; %bb.141:
	s_waitcnt lgkmcnt(1)
	v_add_co_u32 v3, vcc_lo, v0, v4
	v_add_co_ci_u32_e32 v1, vcc_lo, 0, v1, vcc_lo
	s_delay_alu instid0(VALU_DEP_2) | instskip(SKIP_1) | instid1(VALU_DEP_2)
	v_add_co_u32 v0, vcc_lo, 0, v3
	s_waitcnt lgkmcnt(0)
	v_add_co_ci_u32_e32 v1, vcc_lo, v2, v1, vcc_lo
.LBB23_142:
	s_or_b32 exec_lo, exec_lo, s1
	s_waitcnt lgkmcnt(0)
	v_and_b32_e32 v2, 0x3e0, v16
	v_lshrrev_b32_e32 v4, 5, v16
	s_delay_alu instid0(VALU_DEP_2) | instskip(NEXT) | instid1(VALU_DEP_1)
	v_min_u32_e32 v2, 0xe0, v2
	v_or_b32_e32 v2, 31, v2
	s_delay_alu instid0(VALU_DEP_1) | instskip(NEXT) | instid1(VALU_DEP_4)
	v_cmp_eq_u32_e32 vcc_lo, v2, v16
	v_lshlrev_b32_e32 v2, 3, v4
	s_and_saveexec_b32 s1, vcc_lo
	s_cbranch_execz .LBB23_144
; %bb.143:
	ds_store_b64 v2, v[0:1] offset:18432
.LBB23_144:
	s_or_b32 exec_lo, exec_lo, s1
	s_delay_alu instid0(SALU_CYCLE_1)
	s_mov_b32 s1, exec_lo
	s_waitcnt lgkmcnt(0)
	s_barrier
	buffer_gl0_inv
	v_cmpx_gt_u32_e32 8, v16
	s_cbranch_execz .LBB23_152
; %bb.145:
	v_lshlrev_b32_e32 v5, 3, v16
	v_and_b32_e32 v4, 7, v45
	s_mov_b32 s2, exec_lo
	ds_load_b64 v[0:1], v5 offset:18432
	s_waitcnt lgkmcnt(0)
	v_mov_b32_e32 v6, v0
	v_mov_b32_dpp v10, v0 row_shr:1 row_mask:0xf bank_mask:0xf
	v_mov_b32_dpp v7, v1 row_shr:1 row_mask:0xf bank_mask:0xf
	v_cmpx_ne_u32_e32 0, v4
; %bb.146:
	s_delay_alu instid0(VALU_DEP_3) | instskip(SKIP_1) | instid1(VALU_DEP_2)
	v_add_co_u32 v6, vcc_lo, v0, v10
	v_add_co_ci_u32_e32 v1, vcc_lo, 0, v1, vcc_lo
	v_add_co_u32 v0, vcc_lo, 0, v6
	s_delay_alu instid0(VALU_DEP_2)
	v_add_co_ci_u32_e32 v1, vcc_lo, v7, v1, vcc_lo
; %bb.147:
	s_or_b32 exec_lo, exec_lo, s2
	v_mov_b32_dpp v10, v6 row_shr:2 row_mask:0xf bank_mask:0xf
	s_delay_alu instid0(VALU_DEP_2)
	v_mov_b32_dpp v7, v1 row_shr:2 row_mask:0xf bank_mask:0xf
	s_mov_b32 s2, exec_lo
	v_cmpx_lt_u32_e32 1, v4
; %bb.148:
	s_delay_alu instid0(VALU_DEP_3) | instskip(SKIP_1) | instid1(VALU_DEP_2)
	v_add_co_u32 v6, vcc_lo, v0, v10
	v_add_co_ci_u32_e32 v1, vcc_lo, 0, v1, vcc_lo
	v_add_co_u32 v0, vcc_lo, 0, v6
	s_delay_alu instid0(VALU_DEP_2)
	v_add_co_ci_u32_e32 v1, vcc_lo, v7, v1, vcc_lo
; %bb.149:
	s_or_b32 exec_lo, exec_lo, s2
	v_add_nc_u32_e32 v5, 0x4800, v5
	v_mov_b32_dpp v7, v6 row_shr:4 row_mask:0xf bank_mask:0xf
	s_delay_alu instid0(VALU_DEP_3)
	v_mov_b32_dpp v6, v1 row_shr:4 row_mask:0xf bank_mask:0xf
	s_mov_b32 s2, exec_lo
	v_cmpx_lt_u32_e32 3, v4
; %bb.150:
	s_delay_alu instid0(VALU_DEP_3) | instskip(SKIP_1) | instid1(VALU_DEP_2)
	v_add_co_u32 v0, vcc_lo, v0, v7
	v_add_co_ci_u32_e32 v1, vcc_lo, 0, v1, vcc_lo
	v_add_co_u32 v0, vcc_lo, v0, 0
	s_delay_alu instid0(VALU_DEP_2)
	v_add_co_ci_u32_e32 v1, vcc_lo, v1, v6, vcc_lo
; %bb.151:
	s_or_b32 exec_lo, exec_lo, s2
	ds_store_b64 v5, v[0:1]
.LBB23_152:
	s_or_b32 exec_lo, exec_lo, s1
	v_cmp_gt_u32_e32 vcc_lo, 32, v16
	s_mov_b32 s2, exec_lo
	s_waitcnt lgkmcnt(0)
	s_barrier
	buffer_gl0_inv
                                        ; implicit-def: $vgpr10_vgpr11
	v_cmpx_lt_u32_e32 31, v16
	s_cbranch_execz .LBB23_154
; %bb.153:
	ds_load_b64 v[10:11], v2 offset:18424
	s_waitcnt lgkmcnt(0)
	v_add_nc_u32_e32 v3, v3, v10
.LBB23_154:
	s_or_b32 exec_lo, exec_lo, s2
	v_add_nc_u32_e32 v0, -1, v45
	s_delay_alu instid0(VALU_DEP_1) | instskip(NEXT) | instid1(VALU_DEP_1)
	v_cmp_gt_i32_e64 s1, 0, v0
	v_cndmask_b32_e64 v0, v0, v45, s1
	v_cmp_eq_u32_e64 s1, 0, v45
	s_delay_alu instid0(VALU_DEP_2)
	v_lshlrev_b32_e32 v0, 2, v0
	ds_bpermute_b32 v46, v0, v3
	s_and_saveexec_b32 s2, vcc_lo
	s_cbranch_execz .LBB23_192
; %bb.155:
	v_mov_b32_e32 v3, 0
	ds_load_b64 v[0:1], v3 offset:18488
	s_and_saveexec_b32 s3, s1
	s_cbranch_execz .LBB23_157
; %bb.156:
	s_add_i32 s4, s30, 32
	s_mov_b32 s5, 0
	s_delay_alu instid0(SALU_CYCLE_1) | instskip(NEXT) | instid1(SALU_CYCLE_1)
	s_lshl_b64 s[4:5], s[4:5], 4
	s_add_u32 s4, s28, s4
	s_addc_u32 s5, s29, s5
	v_mov_b32_e32 v4, s4
	v_dual_mov_b32 v2, 1 :: v_dual_mov_b32 v5, s5
	s_waitcnt lgkmcnt(0)
	;;#ASMSTART
	global_store_dwordx4 v[4:5], v[0:3] off	
s_waitcnt vmcnt(0)
	;;#ASMEND
.LBB23_157:
	s_or_b32 exec_lo, exec_lo, s3
	v_xad_u32 v11, v45, -1, s30
	s_mov_b32 s4, 0
	s_mov_b32 s3, exec_lo
	s_delay_alu instid0(VALU_DEP_1) | instskip(NEXT) | instid1(VALU_DEP_1)
	v_add_nc_u32_e32 v2, 32, v11
	v_lshlrev_b64 v[2:3], 4, v[2:3]
	s_delay_alu instid0(VALU_DEP_1) | instskip(NEXT) | instid1(VALU_DEP_2)
	v_add_co_u32 v2, vcc_lo, s28, v2
	v_add_co_ci_u32_e32 v3, vcc_lo, s29, v3, vcc_lo
	;;#ASMSTART
	global_load_dwordx4 v[4:7], v[2:3] off glc	
s_waitcnt vmcnt(0)
	;;#ASMEND
	v_and_b32_e32 v7, 0xff, v5
	v_and_b32_e32 v12, 0xff00, v5
	;; [unrolled: 1-line block ×3, first 2 shown]
	v_or3_b32 v4, v4, 0, 0
	v_and_b32_e32 v5, 0xff000000, v5
	s_delay_alu instid0(VALU_DEP_4) | instskip(SKIP_1) | instid1(VALU_DEP_4)
	v_or3_b32 v7, 0, v7, v12
	v_and_b32_e32 v12, 0xff, v6
	v_or3_b32 v4, v4, 0, 0
	s_delay_alu instid0(VALU_DEP_3) | instskip(NEXT) | instid1(VALU_DEP_3)
	v_or3_b32 v5, v7, v13, v5
	v_cmpx_eq_u16_e32 0, v12
	s_cbranch_execz .LBB23_160
.LBB23_158:                             ; =>This Inner Loop Header: Depth=1
	;;#ASMSTART
	global_load_dwordx4 v[4:7], v[2:3] off glc	
s_waitcnt vmcnt(0)
	;;#ASMEND
	v_and_b32_e32 v7, 0xff, v6
	s_delay_alu instid0(VALU_DEP_1) | instskip(SKIP_1) | instid1(SALU_CYCLE_1)
	v_cmp_ne_u16_e32 vcc_lo, 0, v7
	s_or_b32 s4, vcc_lo, s4
	s_and_not1_b32 exec_lo, exec_lo, s4
	s_cbranch_execnz .LBB23_158
; %bb.159:
	s_or_b32 exec_lo, exec_lo, s4
.LBB23_160:
	s_delay_alu instid0(SALU_CYCLE_1)
	s_or_b32 exec_lo, exec_lo, s3
	v_cmp_ne_u32_e32 vcc_lo, 31, v45
	v_and_b32_e32 v3, 0xff, v6
	v_lshlrev_b32_e64 v48, v45, -1
	s_mov_b32 s3, exec_lo
	v_add_co_ci_u32_e32 v2, vcc_lo, 0, v45, vcc_lo
	s_delay_alu instid0(VALU_DEP_3) | instskip(SKIP_1) | instid1(VALU_DEP_3)
	v_cmp_eq_u16_e32 vcc_lo, 2, v3
	v_mov_b32_e32 v3, v4
	v_lshlrev_b32_e32 v47, 2, v2
	v_and_or_b32 v2, vcc_lo, v48, 0x80000000
	ds_bpermute_b32 v12, v47, v4
	ds_bpermute_b32 v7, v47, v5
	v_ctz_i32_b32_e32 v2, v2
	s_delay_alu instid0(VALU_DEP_1)
	v_cmpx_lt_u32_e64 v45, v2
	s_cbranch_execz .LBB23_162
; %bb.161:
	s_waitcnt lgkmcnt(1)
	v_add_co_u32 v3, vcc_lo, v4, v12
	v_add_co_ci_u32_e32 v5, vcc_lo, 0, v5, vcc_lo
	s_delay_alu instid0(VALU_DEP_2) | instskip(SKIP_1) | instid1(VALU_DEP_2)
	v_add_co_u32 v4, vcc_lo, 0, v3
	s_waitcnt lgkmcnt(0)
	v_add_co_ci_u32_e32 v5, vcc_lo, v7, v5, vcc_lo
.LBB23_162:
	s_or_b32 exec_lo, exec_lo, s3
	v_cmp_gt_u32_e32 vcc_lo, 30, v45
	v_add_nc_u32_e32 v50, 2, v45
	s_mov_b32 s3, exec_lo
	s_waitcnt lgkmcnt(0)
	v_cndmask_b32_e64 v7, 0, 1, vcc_lo
	s_delay_alu instid0(VALU_DEP_1) | instskip(NEXT) | instid1(VALU_DEP_1)
	v_lshlrev_b32_e32 v7, 1, v7
	v_add_lshl_u32 v49, v7, v45, 2
	ds_bpermute_b32 v12, v49, v3
	ds_bpermute_b32 v7, v49, v5
	v_cmpx_le_u32_e64 v50, v2
	s_cbranch_execz .LBB23_164
; %bb.163:
	s_waitcnt lgkmcnt(1)
	v_add_co_u32 v3, vcc_lo, v4, v12
	v_add_co_ci_u32_e32 v5, vcc_lo, 0, v5, vcc_lo
	s_delay_alu instid0(VALU_DEP_2) | instskip(SKIP_1) | instid1(VALU_DEP_2)
	v_add_co_u32 v4, vcc_lo, 0, v3
	s_waitcnt lgkmcnt(0)
	v_add_co_ci_u32_e32 v5, vcc_lo, v7, v5, vcc_lo
.LBB23_164:
	s_or_b32 exec_lo, exec_lo, s3
	v_cmp_gt_u32_e32 vcc_lo, 28, v45
	v_add_nc_u32_e32 v52, 4, v45
	s_mov_b32 s3, exec_lo
	s_waitcnt lgkmcnt(0)
	v_cndmask_b32_e64 v7, 0, 1, vcc_lo
	s_delay_alu instid0(VALU_DEP_1) | instskip(NEXT) | instid1(VALU_DEP_1)
	v_lshlrev_b32_e32 v7, 2, v7
	v_add_lshl_u32 v51, v7, v45, 2
	ds_bpermute_b32 v12, v51, v3
	ds_bpermute_b32 v7, v51, v5
	v_cmpx_le_u32_e64 v52, v2
	;; [unrolled: 22-line block ×4, first 2 shown]
	s_cbranch_execz .LBB23_170
; %bb.169:
	s_waitcnt lgkmcnt(1)
	v_add_co_u32 v2, vcc_lo, v4, v7
	v_add_co_ci_u32_e32 v5, vcc_lo, 0, v5, vcc_lo
	s_delay_alu instid0(VALU_DEP_2) | instskip(SKIP_1) | instid1(VALU_DEP_2)
	v_add_co_u32 v4, vcc_lo, v2, 0
	s_waitcnt lgkmcnt(0)
	v_add_co_ci_u32_e32 v5, vcc_lo, v5, v3, vcc_lo
.LBB23_170:
	s_or_b32 exec_lo, exec_lo, s3
	v_mov_b32_e32 v12, 0
	s_branch .LBB23_172
.LBB23_171:                             ;   in Loop: Header=BB23_172 Depth=1
	s_or_b32 exec_lo, exec_lo, s3
	v_add_co_u32 v4, vcc_lo, v4, v2
	v_subrev_nc_u32_e32 v11, 32, v11
	v_add_co_ci_u32_e32 v5, vcc_lo, v5, v3, vcc_lo
.LBB23_172:                             ; =>This Loop Header: Depth=1
                                        ;     Child Loop BB23_175 Depth 2
	v_and_b32_e32 v2, 0xff, v6
	s_delay_alu instid0(VALU_DEP_1) | instskip(SKIP_2) | instid1(VALU_DEP_1)
	v_cmp_ne_u16_e32 vcc_lo, 2, v2
	v_cndmask_b32_e64 v2, 0, 1, vcc_lo
	;;#ASMSTART
	;;#ASMEND
	v_cmp_ne_u32_e32 vcc_lo, 0, v2
	s_waitcnt lgkmcnt(0)
	v_dual_mov_b32 v2, v4 :: v_dual_mov_b32 v3, v5
	s_cmp_lg_u32 vcc_lo, exec_lo
	s_cbranch_scc1 .LBB23_187
; %bb.173:                              ;   in Loop: Header=BB23_172 Depth=1
	v_lshlrev_b64 v[4:5], 4, v[11:12]
	s_mov_b32 s3, exec_lo
	s_delay_alu instid0(VALU_DEP_1) | instskip(NEXT) | instid1(VALU_DEP_2)
	v_add_co_u32 v13, vcc_lo, s28, v4
	v_add_co_ci_u32_e32 v14, vcc_lo, s29, v5, vcc_lo
	;;#ASMSTART
	global_load_dwordx4 v[4:7], v[13:14] off glc	
s_waitcnt vmcnt(0)
	;;#ASMEND
	v_and_b32_e32 v7, 0xff, v5
	v_and_b32_e32 v57, 0xff00, v5
	;; [unrolled: 1-line block ×3, first 2 shown]
	v_or3_b32 v4, v4, 0, 0
	v_and_b32_e32 v5, 0xff000000, v5
	s_delay_alu instid0(VALU_DEP_4) | instskip(SKIP_1) | instid1(VALU_DEP_4)
	v_or3_b32 v7, 0, v7, v57
	v_and_b32_e32 v57, 0xff, v6
	v_or3_b32 v4, v4, 0, 0
	s_delay_alu instid0(VALU_DEP_3) | instskip(NEXT) | instid1(VALU_DEP_3)
	v_or3_b32 v5, v7, v58, v5
	v_cmpx_eq_u16_e32 0, v57
	s_cbranch_execz .LBB23_177
; %bb.174:                              ;   in Loop: Header=BB23_172 Depth=1
	s_mov_b32 s4, 0
.LBB23_175:                             ;   Parent Loop BB23_172 Depth=1
                                        ; =>  This Inner Loop Header: Depth=2
	;;#ASMSTART
	global_load_dwordx4 v[4:7], v[13:14] off glc	
s_waitcnt vmcnt(0)
	;;#ASMEND
	v_and_b32_e32 v7, 0xff, v6
	s_delay_alu instid0(VALU_DEP_1) | instskip(SKIP_1) | instid1(SALU_CYCLE_1)
	v_cmp_ne_u16_e32 vcc_lo, 0, v7
	s_or_b32 s4, vcc_lo, s4
	s_and_not1_b32 exec_lo, exec_lo, s4
	s_cbranch_execnz .LBB23_175
; %bb.176:                              ;   in Loop: Header=BB23_172 Depth=1
	s_or_b32 exec_lo, exec_lo, s4
.LBB23_177:                             ;   in Loop: Header=BB23_172 Depth=1
	s_delay_alu instid0(SALU_CYCLE_1)
	s_or_b32 exec_lo, exec_lo, s3
	v_and_b32_e32 v7, 0xff, v6
	ds_bpermute_b32 v57, v47, v4
	ds_bpermute_b32 v14, v47, v5
	v_mov_b32_e32 v13, v4
	s_mov_b32 s3, exec_lo
	v_cmp_eq_u16_e32 vcc_lo, 2, v7
	v_and_or_b32 v7, vcc_lo, v48, 0x80000000
	s_delay_alu instid0(VALU_DEP_1) | instskip(NEXT) | instid1(VALU_DEP_1)
	v_ctz_i32_b32_e32 v7, v7
	v_cmpx_lt_u32_e64 v45, v7
	s_cbranch_execz .LBB23_179
; %bb.178:                              ;   in Loop: Header=BB23_172 Depth=1
	s_waitcnt lgkmcnt(1)
	v_add_co_u32 v13, vcc_lo, v4, v57
	v_add_co_ci_u32_e32 v5, vcc_lo, 0, v5, vcc_lo
	s_delay_alu instid0(VALU_DEP_2) | instskip(SKIP_1) | instid1(VALU_DEP_2)
	v_add_co_u32 v4, vcc_lo, 0, v13
	s_waitcnt lgkmcnt(0)
	v_add_co_ci_u32_e32 v5, vcc_lo, v14, v5, vcc_lo
.LBB23_179:                             ;   in Loop: Header=BB23_172 Depth=1
	s_or_b32 exec_lo, exec_lo, s3
	s_waitcnt lgkmcnt(1)
	ds_bpermute_b32 v57, v49, v13
	s_waitcnt lgkmcnt(1)
	ds_bpermute_b32 v14, v49, v5
	s_mov_b32 s3, exec_lo
	v_cmpx_le_u32_e64 v50, v7
	s_cbranch_execz .LBB23_181
; %bb.180:                              ;   in Loop: Header=BB23_172 Depth=1
	s_waitcnt lgkmcnt(1)
	v_add_co_u32 v13, vcc_lo, v4, v57
	v_add_co_ci_u32_e32 v5, vcc_lo, 0, v5, vcc_lo
	s_delay_alu instid0(VALU_DEP_2) | instskip(SKIP_1) | instid1(VALU_DEP_2)
	v_add_co_u32 v4, vcc_lo, 0, v13
	s_waitcnt lgkmcnt(0)
	v_add_co_ci_u32_e32 v5, vcc_lo, v14, v5, vcc_lo
.LBB23_181:                             ;   in Loop: Header=BB23_172 Depth=1
	s_or_b32 exec_lo, exec_lo, s3
	s_waitcnt lgkmcnt(1)
	ds_bpermute_b32 v57, v51, v13
	s_waitcnt lgkmcnt(1)
	ds_bpermute_b32 v14, v51, v5
	s_mov_b32 s3, exec_lo
	v_cmpx_le_u32_e64 v52, v7
	;; [unrolled: 17-line block ×3, first 2 shown]
	s_cbranch_execz .LBB23_185
; %bb.184:                              ;   in Loop: Header=BB23_172 Depth=1
	s_waitcnt lgkmcnt(1)
	v_add_co_u32 v13, vcc_lo, v4, v57
	v_add_co_ci_u32_e32 v5, vcc_lo, 0, v5, vcc_lo
	s_delay_alu instid0(VALU_DEP_2) | instskip(SKIP_1) | instid1(VALU_DEP_2)
	v_add_co_u32 v4, vcc_lo, 0, v13
	s_waitcnt lgkmcnt(0)
	v_add_co_ci_u32_e32 v5, vcc_lo, v14, v5, vcc_lo
.LBB23_185:                             ;   in Loop: Header=BB23_172 Depth=1
	s_or_b32 exec_lo, exec_lo, s3
	s_waitcnt lgkmcnt(0)
	ds_bpermute_b32 v14, v55, v13
	ds_bpermute_b32 v13, v55, v5
	s_mov_b32 s3, exec_lo
	v_cmpx_le_u32_e64 v56, v7
	s_cbranch_execz .LBB23_171
; %bb.186:                              ;   in Loop: Header=BB23_172 Depth=1
	s_waitcnt lgkmcnt(1)
	v_add_co_u32 v4, vcc_lo, v4, v14
	v_add_co_ci_u32_e32 v5, vcc_lo, 0, v5, vcc_lo
	s_delay_alu instid0(VALU_DEP_2) | instskip(SKIP_1) | instid1(VALU_DEP_2)
	v_add_co_u32 v4, vcc_lo, v4, 0
	s_waitcnt lgkmcnt(0)
	v_add_co_ci_u32_e32 v5, vcc_lo, v5, v13, vcc_lo
	s_branch .LBB23_171
.LBB23_187:                             ;   in Loop: Header=BB23_172 Depth=1
                                        ; implicit-def: $vgpr4_vgpr5
	s_cbranch_execz .LBB23_172
; %bb.188:
	s_and_saveexec_b32 s3, s1
	s_cbranch_execz .LBB23_190
; %bb.189:
	s_add_i32 s4, s30, 32
	s_mov_b32 s5, 0
	v_add_co_u32 v4, vcc_lo, v2, v0
	s_lshl_b64 s[4:5], s[4:5], 4
	v_dual_mov_b32 v6, 2 :: v_dual_mov_b32 v7, 0
	s_add_u32 s4, s28, s4
	s_addc_u32 s5, s29, s5
	v_add_co_ci_u32_e32 v5, vcc_lo, v3, v1, vcc_lo
	v_dual_mov_b32 v12, s5 :: v_dual_mov_b32 v11, s4
	;;#ASMSTART
	global_store_dwordx4 v[11:12], v[4:7] off	
s_waitcnt vmcnt(0)
	;;#ASMEND
	ds_store_b128 v7, v[0:3] offset:18496
.LBB23_190:
	s_or_b32 exec_lo, exec_lo, s3
	s_delay_alu instid0(SALU_CYCLE_1)
	s_and_b32 exec_lo, exec_lo, s0
	s_cbranch_execz .LBB23_192
; %bb.191:
	v_mov_b32_e32 v0, 0
	ds_store_b64 v0, v[2:3] offset:18488
.LBB23_192:
	s_or_b32 exec_lo, exec_lo, s2
	v_mov_b32_e32 v0, 0
	s_waitcnt lgkmcnt(0)
	s_barrier
	buffer_gl0_inv
	s_movk_i32 s5, 0x4840
	ds_load_b64 v[2:3], v0 offset:18488
	s_waitcnt lgkmcnt(0)
	s_barrier
	buffer_gl0_inv
	ds_load_b64 v[0:1], v0 offset:18504
	v_cndmask_b32_e64 v3, v46, v10, s1
	s_delay_alu instid0(VALU_DEP_1) | instskip(NEXT) | instid1(VALU_DEP_1)
	v_cndmask_b32_e64 v3, v3, 0, s0
	v_add_co_u32 v4, vcc_lo, v2, v3
	s_branch .LBB23_217
.LBB23_193:
                                        ; implicit-def: $vgpr0_vgpr1
                                        ; implicit-def: $sgpr5
                                        ; implicit-def: $vgpr4_vgpr5
	s_and_b32 vcc_lo, exec_lo, s1
	s_cbranch_vccz .LBB23_217
; %bb.194:
	v_mbcnt_lo_u32_b32 v4, -1, 0
	v_mov_b32_e32 v2, 0
	v_mov_b32_dpp v6, v8 row_shr:1 row_mask:0xf bank_mask:0xf
	s_waitcnt lgkmcnt(0)
	v_dual_mov_b32 v0, v8 :: v_dual_mov_b32 v1, v9
	v_and_b32_e32 v3, 15, v4
	v_mov_b32_dpp v5, v2 row_shr:1 row_mask:0xf bank_mask:0xf
	s_mov_b32 s1, exec_lo
	s_delay_alu instid0(VALU_DEP_2)
	v_cmpx_ne_u32_e32 0, v3
; %bb.195:
	v_add_co_u32 v8, s2, v6, v8
	s_delay_alu instid0(VALU_DEP_1) | instskip(NEXT) | instid1(VALU_DEP_2)
	v_add_co_ci_u32_e64 v0, null, 0, 0, s2
	v_add_co_u32 v1, vcc_lo, 0, v8
	s_delay_alu instid0(VALU_DEP_2) | instskip(NEXT) | instid1(VALU_DEP_2)
	v_add_co_ci_u32_e32 v2, vcc_lo, v5, v0, vcc_lo
	v_mov_b32_e32 v0, v1
	s_delay_alu instid0(VALU_DEP_2)
	v_mov_b32_e32 v1, v2
; %bb.196:
	s_or_b32 exec_lo, exec_lo, s1
	v_mov_b32_dpp v6, v8 row_shr:2 row_mask:0xf bank_mask:0xf
	v_mov_b32_dpp v5, v2 row_shr:2 row_mask:0xf bank_mask:0xf
	s_mov_b32 s1, exec_lo
	v_cmpx_lt_u32_e32 1, v3
; %bb.197:
	s_delay_alu instid0(VALU_DEP_3) | instskip(SKIP_1) | instid1(VALU_DEP_2)
	v_add_co_u32 v8, vcc_lo, v0, v6
	v_add_co_ci_u32_e32 v0, vcc_lo, 0, v1, vcc_lo
	v_add_co_u32 v1, vcc_lo, 0, v8
	s_delay_alu instid0(VALU_DEP_2) | instskip(NEXT) | instid1(VALU_DEP_2)
	v_add_co_ci_u32_e32 v2, vcc_lo, v5, v0, vcc_lo
	v_mov_b32_e32 v0, v1
	s_delay_alu instid0(VALU_DEP_2)
	v_mov_b32_e32 v1, v2
; %bb.198:
	s_or_b32 exec_lo, exec_lo, s1
	v_mov_b32_dpp v6, v8 row_shr:4 row_mask:0xf bank_mask:0xf
	v_mov_b32_dpp v5, v2 row_shr:4 row_mask:0xf bank_mask:0xf
	s_mov_b32 s1, exec_lo
	v_cmpx_lt_u32_e32 3, v3
; %bb.199:
	s_delay_alu instid0(VALU_DEP_3) | instskip(SKIP_1) | instid1(VALU_DEP_2)
	v_add_co_u32 v8, vcc_lo, v0, v6
	v_add_co_ci_u32_e32 v0, vcc_lo, 0, v1, vcc_lo
	;; [unrolled: 16-line block ×3, first 2 shown]
	v_add_co_u32 v0, vcc_lo, 0, v8
	s_delay_alu instid0(VALU_DEP_2) | instskip(NEXT) | instid1(VALU_DEP_1)
	v_add_co_ci_u32_e32 v1, vcc_lo, v5, v1, vcc_lo
	v_mov_b32_e32 v2, v1
; %bb.202:
	s_or_b32 exec_lo, exec_lo, s1
	ds_swizzle_b32 v3, v8 offset:swizzle(BROADCAST,32,15)
	ds_swizzle_b32 v2, v2 offset:swizzle(BROADCAST,32,15)
	v_and_b32_e32 v5, 16, v4
	s_mov_b32 s1, exec_lo
	s_delay_alu instid0(VALU_DEP_1)
	v_cmpx_ne_u32_e32 0, v5
	s_cbranch_execz .LBB23_204
; %bb.203:
	s_waitcnt lgkmcnt(1)
	v_add_co_u32 v8, vcc_lo, v0, v3
	v_add_co_ci_u32_e32 v1, vcc_lo, 0, v1, vcc_lo
	s_delay_alu instid0(VALU_DEP_2) | instskip(SKIP_1) | instid1(VALU_DEP_2)
	v_add_co_u32 v0, vcc_lo, 0, v8
	s_waitcnt lgkmcnt(0)
	v_add_co_ci_u32_e32 v1, vcc_lo, v2, v1, vcc_lo
.LBB23_204:
	s_or_b32 exec_lo, exec_lo, s1
	s_waitcnt lgkmcnt(0)
	v_and_b32_e32 v2, 0x3e0, v16
	v_lshrrev_b32_e32 v3, 5, v16
	s_mov_b32 s1, exec_lo
	s_delay_alu instid0(VALU_DEP_2) | instskip(NEXT) | instid1(VALU_DEP_2)
	v_min_u32_e32 v2, 0xe0, v2
	v_lshlrev_b32_e32 v5, 3, v3
	s_delay_alu instid0(VALU_DEP_2) | instskip(NEXT) | instid1(VALU_DEP_1)
	v_or_b32_e32 v2, 31, v2
	v_cmpx_eq_u32_e64 v2, v16
	s_cbranch_execz .LBB23_206
; %bb.205:
	ds_store_b64 v5, v[0:1] offset:18432
.LBB23_206:
	s_or_b32 exec_lo, exec_lo, s1
	s_delay_alu instid0(SALU_CYCLE_1)
	s_mov_b32 s1, exec_lo
	s_waitcnt lgkmcnt(0)
	s_barrier
	buffer_gl0_inv
	v_cmpx_gt_u32_e32 8, v16
	s_cbranch_execz .LBB23_214
; %bb.207:
	v_add_nc_u32_e32 v2, v15, v22
	s_mov_b32 s2, exec_lo
	ds_load_b64 v[0:1], v2
	s_waitcnt lgkmcnt(0)
	v_dual_mov_b32 v6, v0 :: v_dual_and_b32 v3, 7, v4
	v_mov_b32_dpp v9, v0 row_shr:1 row_mask:0xf bank_mask:0xf
	v_mov_b32_dpp v7, v1 row_shr:1 row_mask:0xf bank_mask:0xf
	s_delay_alu instid0(VALU_DEP_3)
	v_cmpx_ne_u32_e32 0, v3
; %bb.208:
	s_delay_alu instid0(VALU_DEP_3) | instskip(SKIP_1) | instid1(VALU_DEP_2)
	v_add_co_u32 v6, vcc_lo, v0, v9
	v_add_co_ci_u32_e32 v1, vcc_lo, 0, v1, vcc_lo
	v_add_co_u32 v0, vcc_lo, 0, v6
	s_delay_alu instid0(VALU_DEP_2)
	v_add_co_ci_u32_e32 v1, vcc_lo, v7, v1, vcc_lo
; %bb.209:
	s_or_b32 exec_lo, exec_lo, s2
	v_mov_b32_dpp v9, v6 row_shr:2 row_mask:0xf bank_mask:0xf
	s_delay_alu instid0(VALU_DEP_2)
	v_mov_b32_dpp v7, v1 row_shr:2 row_mask:0xf bank_mask:0xf
	s_mov_b32 s2, exec_lo
	v_cmpx_lt_u32_e32 1, v3
; %bb.210:
	s_delay_alu instid0(VALU_DEP_3) | instskip(SKIP_1) | instid1(VALU_DEP_2)
	v_add_co_u32 v6, vcc_lo, v0, v9
	v_add_co_ci_u32_e32 v1, vcc_lo, 0, v1, vcc_lo
	v_add_co_u32 v0, vcc_lo, 0, v6
	s_delay_alu instid0(VALU_DEP_2)
	v_add_co_ci_u32_e32 v1, vcc_lo, v7, v1, vcc_lo
; %bb.211:
	s_or_b32 exec_lo, exec_lo, s2
	v_mov_b32_dpp v7, v6 row_shr:4 row_mask:0xf bank_mask:0xf
	s_delay_alu instid0(VALU_DEP_2)
	v_mov_b32_dpp v6, v1 row_shr:4 row_mask:0xf bank_mask:0xf
	s_mov_b32 s2, exec_lo
	v_cmpx_lt_u32_e32 3, v3
; %bb.212:
	s_delay_alu instid0(VALU_DEP_3) | instskip(SKIP_1) | instid1(VALU_DEP_2)
	v_add_co_u32 v0, vcc_lo, v0, v7
	v_add_co_ci_u32_e32 v1, vcc_lo, 0, v1, vcc_lo
	v_add_co_u32 v0, vcc_lo, v0, 0
	s_delay_alu instid0(VALU_DEP_2)
	v_add_co_ci_u32_e32 v1, vcc_lo, v1, v6, vcc_lo
; %bb.213:
	s_or_b32 exec_lo, exec_lo, s2
	ds_store_b64 v2, v[0:1]
.LBB23_214:
	s_or_b32 exec_lo, exec_lo, s1
	v_mov_b32_e32 v0, 0
	v_mov_b32_e32 v1, 0
	s_mov_b32 s1, exec_lo
	s_waitcnt lgkmcnt(0)
	s_barrier
	buffer_gl0_inv
	v_dual_mov_b32 v3, v1 :: v_dual_mov_b32 v2, v0
	v_cmpx_lt_u32_e32 31, v16
	s_cbranch_execz .LBB23_216
; %bb.215:
	ds_load_b64 v[2:3], v5 offset:18424
.LBB23_216:
	s_or_b32 exec_lo, exec_lo, s1
	s_waitcnt lgkmcnt(0)
	v_add_nc_u32_e32 v3, -1, v4
	v_add_nc_u32_e32 v5, v8, v2
	s_movk_i32 s5, 0x4838
	s_delay_alu instid0(VALU_DEP_2) | instskip(SKIP_2) | instid1(VALU_DEP_2)
	v_cmp_gt_i32_e32 vcc_lo, 0, v3
	v_cndmask_b32_e32 v3, v3, v4, vcc_lo
	v_cmp_eq_u32_e32 vcc_lo, 0, v4
	v_lshlrev_b32_e32 v3, 2, v3
	ds_bpermute_b32 v3, v3, v5
	s_waitcnt lgkmcnt(0)
	v_cndmask_b32_e32 v4, v3, v2, vcc_lo
.LBB23_217:
	v_mov_b32_e32 v2, s5
	s_waitcnt lgkmcnt(0)
	s_delay_alu instid0(VALU_DEP_2)
	v_sub_nc_u32_e32 v4, v4, v0
	s_xor_b32 s1, s12, -1
	s_xor_b32 s2, s13, -1
	;; [unrolled: 1-line block ×3, first 2 shown]
	ds_load_b64 v[2:3], v2
	s_xor_b32 s4, s31, -1
	s_xor_b32 s6, s18, -1
	s_waitcnt lgkmcnt(0)
	s_barrier
	buffer_gl0_inv
	s_and_saveexec_b32 s5, s15
	s_cbranch_execnz .LBB23_263
; %bb.218:
	s_or_b32 exec_lo, exec_lo, s5
	s_and_saveexec_b32 s5, s6
	s_cbranch_execnz .LBB23_264
.LBB23_219:
	s_or_b32 exec_lo, exec_lo, s5
	s_and_saveexec_b32 s5, s4
	s_cbranch_execnz .LBB23_265
.LBB23_220:
	s_or_b32 exec_lo, exec_lo, s5
	s_and_saveexec_b32 s4, s3
	s_cbranch_execnz .LBB23_266
.LBB23_221:
	s_or_b32 exec_lo, exec_lo, s4
	s_and_saveexec_b32 s3, s2
	s_cbranch_execnz .LBB23_267
.LBB23_222:
	s_or_b32 exec_lo, exec_lo, s3
	s_and_saveexec_b32 s2, s1
	s_cbranch_execz .LBB23_224
.LBB23_223:
	v_lshlrev_b32_e32 v5, 2, v4
	v_add_nc_u32_e32 v4, 1, v4
	ds_store_b32 v5, v28 offset:19456
.LBB23_224:
	s_or_b32 exec_lo, exec_lo, s2
	v_and_b32_e32 v5, 64, v44
	s_mov_b32 s1, exec_lo
	s_delay_alu instid0(VALU_DEP_1)
	v_cmpx_ne_u32_e32 0, v5
	s_cbranch_execz .LBB23_226
; %bb.225:
	v_lshlrev_b32_e32 v5, 2, v4
	v_add_nc_u32_e32 v4, 1, v4
	ds_store_b32 v5, v29 offset:19456
.LBB23_226:
	s_or_b32 exec_lo, exec_lo, s1
	v_and_b32_e32 v5, 0x80, v43
	s_mov_b32 s1, exec_lo
	s_delay_alu instid0(VALU_DEP_1)
	v_cmpx_ne_u32_e32 0, v5
	s_cbranch_execz .LBB23_228
; %bb.227:
	v_lshlrev_b32_e32 v5, 2, v4
	v_add_nc_u32_e32 v4, 1, v4
	ds_store_b32 v5, v30 offset:19456
.LBB23_228:
	;; [unrolled: 11-line block ×9, first 2 shown]
	s_or_b32 exec_lo, exec_lo, s1
	v_and_b32_e32 v5, 0x8000, v39
	s_mov_b32 s1, exec_lo
	s_delay_alu instid0(VALU_DEP_1)
	v_cmpx_ne_u32_e32 0, v5
	s_cbranch_execz .LBB23_244
; %bb.243:
	v_lshlrev_b32_e32 v4, 2, v4
	ds_store_b32 v4, v38 offset:19456
.LBB23_244:
	s_or_b32 exec_lo, exec_lo, s1
	s_delay_alu instid0(SALU_CYCLE_1)
	s_mov_b32 s2, exec_lo
	s_waitcnt lgkmcnt(0)
	s_barrier
	buffer_gl0_inv
	v_cmpx_lt_i32_e64 v16, v2
	s_cbranch_execz .LBB23_247
; %bb.245:
	v_lshlrev_b64 v[4:5], 2, v[0:1]
	v_dual_mov_b32 v7, v16 :: v_dual_add_nc_u32 v6, 0x4c00, v22
	s_mov_b32 s3, 0
	s_delay_alu instid0(VALU_DEP_2) | instskip(NEXT) | instid1(VALU_DEP_3)
	v_add_co_u32 v4, vcc_lo, s24, v4
	v_add_co_ci_u32_e32 v5, vcc_lo, s25, v5, vcc_lo
	s_delay_alu instid0(VALU_DEP_2) | instskip(NEXT) | instid1(VALU_DEP_2)
	v_add_co_u32 v4, vcc_lo, v4, v22
	v_add_co_ci_u32_e32 v5, vcc_lo, 0, v5, vcc_lo
	.p2align	6
.LBB23_246:                             ; =>This Inner Loop Header: Depth=1
	ds_load_b32 v8, v6
	v_add_nc_u32_e32 v7, 0x100, v7
	v_add_nc_u32_e32 v6, 0x400, v6
	s_delay_alu instid0(VALU_DEP_2) | instskip(SKIP_4) | instid1(VALU_DEP_1)
	v_cmp_ge_i32_e32 vcc_lo, v7, v2
	s_or_b32 s3, vcc_lo, s3
	s_waitcnt lgkmcnt(0)
	global_store_b32 v[4:5], v8, off
	v_add_co_u32 v4, s1, 0x400, v4
	v_add_co_ci_u32_e64 v5, s1, 0, v5, s1
	s_and_not1_b32 exec_lo, exec_lo, s3
	s_cbranch_execnz .LBB23_246
.LBB23_247:
	s_or_b32 exec_lo, exec_lo, s2
	s_and_saveexec_b32 s1, s0
	s_cbranch_execz .LBB23_249
; %bb.248:
	v_add_co_u32 v0, vcc_lo, v2, v0
	v_mov_b32_e32 v4, 0
	v_add_co_ci_u32_e32 v1, vcc_lo, v3, v1, vcc_lo
	global_store_b64 v4, v[0:1], s[26:27]
.LBB23_249:
	s_or_b32 exec_lo, exec_lo, s1
	s_mov_b32 s0, 0
.LBB23_250:
	s_delay_alu instid0(SALU_CYCLE_1)
	s_and_b32 vcc_lo, exec_lo, s0
	s_cbranch_vccz .LBB23_470
; %bb.251:
	s_ashr_i32 s0, s23, 31
	v_sub_co_u32 v2, s1, v16, s23
	s_delay_alu instid0(VALU_DEP_1) | instskip(SKIP_3) | instid1(VALU_DEP_4)
	v_sub_co_ci_u32_e64 v3, null, 0, s0, s1
	v_subrev_nc_u32_e32 v0, s23, v16
	v_add_nc_u32_e32 v7, 0x200, v16
	v_or_b32_e32 v12, 0x400, v16
	v_lshlrev_b64 v[2:3], 2, v[2:3]
	v_add_nc_u32_e32 v9, 0x300, v16
	v_ashrrev_i32_e32 v1, 31, v0
	v_add_nc_u32_e32 v13, 0x500, v16
	v_subrev_nc_u32_e32 v8, s23, v12
	v_add_nc_u32_e32 v31, 0xe00, v16
	v_add_co_u32 v10, s0, v18, v2
	s_delay_alu instid0(VALU_DEP_1) | instskip(SKIP_2) | instid1(VALU_DEP_2)
	v_add_co_ci_u32_e64 v11, s0, v19, v3, s0
	v_lshlrev_b32_e32 v15, 2, v16
	v_lshlrev_b64 v[4:5], 2, v[0:1]
	v_add_co_u32 v0, vcc_lo, v20, v15
	v_add_co_ci_u32_e32 v1, vcc_lo, 0, v21, vcc_lo
	s_delay_alu instid0(VALU_DEP_3) | instskip(NEXT) | instid1(VALU_DEP_4)
	v_add_co_u32 v4, vcc_lo, v18, v4
	v_add_co_ci_u32_e32 v5, vcc_lo, v19, v5, vcc_lo
	v_cmp_gt_i32_e32 vcc_lo, s23, v16
	s_delay_alu instid0(VALU_DEP_2) | instskip(NEXT) | instid1(VALU_DEP_4)
	v_dual_cndmask_b32 v3, v5, v1 :: v_dual_add_nc_u32 v6, 0x100, v16
	v_cndmask_b32_e32 v2, v4, v0, vcc_lo
	v_cmp_gt_i32_e32 vcc_lo, s23, v7
	s_delay_alu instid0(VALU_DEP_3) | instskip(SKIP_3) | instid1(VALU_DEP_4)
	v_cmp_gt_i32_e64 s0, s23, v6
	v_dual_cndmask_b32 v7, v11, v1 :: v_dual_cndmask_b32 v6, v10, v0
	v_cmp_gt_i32_e32 vcc_lo, s23, v9
	v_ashrrev_i32_e32 v9, 31, v8
	v_cndmask_b32_e64 v5, v11, v1, s0
	v_cndmask_b32_e64 v4, v10, v0, s0
	global_load_b32 v2, v[2:3], off
	global_load_b32 v3, v[4:5], off offset:1024
	global_load_b32 v4, v[6:7], off offset:2048
	v_dual_cndmask_b32 v6, v11, v1 :: v_dual_lshlrev_b32 v11, 2, v12
	v_lshlrev_b64 v[7:8], 2, v[8:9]
	v_subrev_nc_u32_e32 v9, s23, v13
	v_cndmask_b32_e32 v5, v10, v0, vcc_lo
	s_delay_alu instid0(VALU_DEP_4) | instskip(NEXT) | instid1(VALU_DEP_3)
	v_add_co_u32 v14, vcc_lo, v20, v11
	v_ashrrev_i32_e32 v10, 31, v9
	v_add_co_ci_u32_e32 v11, vcc_lo, 0, v21, vcc_lo
	v_add_co_u32 v22, vcc_lo, v18, v7
	v_add_co_ci_u32_e32 v23, vcc_lo, v19, v8, vcc_lo
	s_delay_alu instid0(VALU_DEP_4) | instskip(SKIP_3) | instid1(VALU_DEP_4)
	v_lshlrev_b64 v[7:8], 2, v[9:10]
	v_add_co_u32 v9, s0, 0x1400, v0
	v_cmp_gt_i32_e32 vcc_lo, s23, v12
	v_add_co_ci_u32_e64 v12, s0, 0, v1, s0
	v_add_co_u32 v7, s0, v18, v7
	s_delay_alu instid0(VALU_DEP_1) | instskip(SKIP_3) | instid1(VALU_DEP_3)
	v_add_co_ci_u32_e64 v25, s0, v19, v8, s0
	v_cmp_gt_i32_e64 s0, s23, v13
	v_dual_cndmask_b32 v11, v23, v11 :: v_dual_cndmask_b32 v10, v22, v14
	v_add_nc_u32_e32 v14, 0x700, v16
	v_cndmask_b32_e64 v13, v25, v12, s0
	v_cndmask_b32_e64 v12, v7, v9, s0
	global_load_b32 v5, v[5:6], off offset:3072
	global_load_b32 v6, v[10:11], off
	global_load_b32 v7, v[12:13], off
	v_add_co_u32 v12, vcc_lo, 0x1800, v0
	v_add_co_ci_u32_e32 v13, vcc_lo, 0, v1, vcc_lo
	v_add_nc_u32_e32 v24, 0x600, v16
	v_subrev_nc_u32_e32 v10, s23, v14
	v_or_b32_e32 v25, 0x800, v16
	s_delay_alu instid0(VALU_DEP_3) | instskip(NEXT) | instid1(VALU_DEP_3)
	v_subrev_nc_u32_e32 v8, s23, v24
	v_ashrrev_i32_e32 v11, 31, v10
	s_delay_alu instid0(VALU_DEP_2) | instskip(NEXT) | instid1(VALU_DEP_1)
	v_ashrrev_i32_e32 v9, 31, v8
	v_lshlrev_b64 v[8:9], 2, v[8:9]
	s_delay_alu instid0(VALU_DEP_1) | instskip(NEXT) | instid1(VALU_DEP_2)
	v_add_co_u32 v22, vcc_lo, v18, v8
	v_add_co_ci_u32_e32 v23, vcc_lo, v19, v9, vcc_lo
	v_lshlrev_b64 v[8:9], 2, v[10:11]
	v_add_co_u32 v11, s0, 0x1c00, v0
	v_cmp_gt_i32_e32 vcc_lo, s23, v24
	v_add_co_ci_u32_e64 v24, s0, 0, v1, s0
	s_delay_alu instid0(VALU_DEP_4) | instskip(NEXT) | instid1(VALU_DEP_1)
	v_add_co_u32 v26, s0, v18, v8
	v_add_co_ci_u32_e64 v27, s0, v19, v9, s0
	v_cndmask_b32_e32 v9, v23, v13, vcc_lo
	v_cmp_gt_i32_e64 s0, s23, v14
	v_subrev_nc_u32_e32 v10, s23, v25
	v_cndmask_b32_e32 v8, v22, v12, vcc_lo
	v_add_nc_u32_e32 v14, 0x900, v16
	v_lshlrev_b32_e32 v22, 2, v25
	v_cndmask_b32_e64 v13, v27, v24, s0
	v_cndmask_b32_e64 v12, v26, v11, s0
	v_ashrrev_i32_e32 v11, 31, v10
	global_load_b32 v8, v[8:9], off
	v_add_co_u32 v22, vcc_lo, v20, v22
	global_load_b32 v9, v[12:13], off
	v_subrev_nc_u32_e32 v12, s23, v14
	v_lshlrev_b64 v[10:11], 2, v[10:11]
	v_add_nc_u32_e32 v27, 0xa00, v16
	v_add_co_ci_u32_e32 v23, vcc_lo, 0, v21, vcc_lo
	s_delay_alu instid0(VALU_DEP_4) | instskip(NEXT) | instid1(VALU_DEP_4)
	v_ashrrev_i32_e32 v13, 31, v12
	v_add_co_u32 v24, vcc_lo, v18, v10
	v_add_co_ci_u32_e32 v26, vcc_lo, v19, v11, vcc_lo
	s_delay_alu instid0(VALU_DEP_3) | instskip(SKIP_3) | instid1(VALU_DEP_1)
	v_lshlrev_b64 v[10:11], 2, v[12:13]
	v_subrev_nc_u32_e32 v12, s23, v27
	v_cmp_gt_i32_e32 vcc_lo, s23, v25
	v_add_co_u32 v25, s0, 0x2400, v0
	v_add_co_ci_u32_e64 v28, s0, 0, v1, s0
	s_delay_alu instid0(VALU_DEP_4) | instskip(SKIP_1) | instid1(VALU_DEP_1)
	v_ashrrev_i32_e32 v13, 31, v12
	v_add_co_u32 v29, s0, v18, v10
	v_add_co_ci_u32_e64 v30, s0, v19, v11, s0
	v_cmp_gt_i32_e64 s0, s23, v14
	v_add_nc_u32_e32 v14, 0xb00, v16
	v_lshlrev_b64 v[12:13], 2, v[12:13]
	v_dual_cndmask_b32 v11, v26, v23 :: v_dual_cndmask_b32 v10, v24, v22
	v_add_co_u32 v26, vcc_lo, 0x2800, v0
	s_delay_alu instid0(VALU_DEP_4)
	v_subrev_nc_u32_e32 v24, s23, v14
	v_cndmask_b32_e64 v23, v30, v28, s0
	v_add_co_ci_u32_e32 v28, vcc_lo, 0, v1, vcc_lo
	v_add_co_u32 v12, vcc_lo, v18, v12
	v_add_co_ci_u32_e32 v13, vcc_lo, v19, v13, vcc_lo
	v_cndmask_b32_e64 v22, v29, v25, s0
	v_ashrrev_i32_e32 v25, 31, v24
	v_cmp_gt_i32_e32 vcc_lo, s23, v27
	v_or_b32_e32 v27, 0xc00, v16
	global_load_b32 v10, v[10:11], off
	global_load_b32 v11, v[22:23], off
	v_lshlrev_b64 v[22:23], 2, v[24:25]
	v_cndmask_b32_e32 v13, v13, v28, vcc_lo
	v_subrev_nc_u32_e32 v24, s23, v27
	v_add_co_u32 v28, s0, 0x2c00, v0
	v_cndmask_b32_e32 v12, v12, v26, vcc_lo
	v_lshlrev_b32_e32 v26, 2, v27
	s_delay_alu instid0(VALU_DEP_4) | instskip(SKIP_4) | instid1(VALU_DEP_1)
	v_ashrrev_i32_e32 v25, 31, v24
	v_cmp_gt_i32_e32 vcc_lo, s23, v14
	v_add_nc_u32_e32 v14, 0xd00, v16
	v_add_co_ci_u32_e64 v29, s0, 0, v1, s0
	v_add_co_u32 v30, s0, v18, v22
	v_add_co_ci_u32_e64 v22, s0, v19, v23, s0
	v_lshlrev_b64 v[23:24], 2, v[24:25]
	v_subrev_nc_u32_e32 v25, s23, v14
	v_add_co_u32 v20, s0, v20, v26
	s_delay_alu instid0(VALU_DEP_4) | instskip(SKIP_1) | instid1(VALU_DEP_4)
	v_cndmask_b32_e32 v22, v22, v29, vcc_lo
	v_add_co_ci_u32_e64 v29, s0, 0, v21, s0
	v_ashrrev_i32_e32 v26, 31, v25
	v_add_co_u32 v23, s0, v18, v23
	s_delay_alu instid0(VALU_DEP_1)
	v_add_co_ci_u32_e64 v24, s0, v19, v24, s0
	v_cndmask_b32_e32 v21, v30, v28, vcc_lo
	v_cmp_gt_i32_e32 vcc_lo, s23, v27
	v_subrev_nc_u32_e32 v27, s23, v31
	v_lshlrev_b64 v[25:26], 2, v[25:26]
	v_cndmask_b32_e32 v24, v24, v29, vcc_lo
	v_add_co_u32 v29, s0, 0x3400, v0
	s_delay_alu instid0(VALU_DEP_4) | instskip(SKIP_2) | instid1(VALU_DEP_1)
	v_ashrrev_i32_e32 v28, 31, v27
	v_add_co_ci_u32_e64 v30, s0, 0, v1, s0
	v_add_co_u32 v32, s0, v18, v25
	v_add_co_ci_u32_e64 v33, s0, v19, v26, s0
	s_delay_alu instid0(VALU_DEP_4) | instskip(SKIP_2) | instid1(VALU_DEP_1)
	v_lshlrev_b64 v[25:26], 2, v[27:28]
	v_cmp_gt_i32_e64 s0, s23, v14
	v_add_co_u32 v14, s1, 0x3800, v0
	v_add_co_ci_u32_e64 v27, s1, 0, v1, s1
	s_delay_alu instid0(VALU_DEP_4) | instskip(NEXT) | instid1(VALU_DEP_1)
	v_add_co_u32 v34, s1, v18, v25
	v_add_co_ci_u32_e64 v28, s1, v19, v26, s1
	v_cmp_gt_i32_e64 s1, s23, v31
	v_cndmask_b32_e32 v23, v23, v20, vcc_lo
	v_cndmask_b32_e64 v26, v33, v30, s0
	v_cndmask_b32_e64 v25, v32, v29, s0
	s_mov_b32 s0, exec_lo
	v_cndmask_b32_e64 v28, v28, v27, s1
	v_cndmask_b32_e64 v27, v34, v14, s1
	global_load_b32 v12, v[12:13], off
	global_load_b32 v13, v[21:22], off
	;; [unrolled: 1-line block ×5, first 2 shown]
	v_add_nc_u32_e32 v22, s23, v17
	v_add_nc_u32_e32 v24, 0xf00, v16
                                        ; implicit-def: $vgpr23
	s_delay_alu instid0(VALU_DEP_1)
	v_cmpx_lt_i32_e64 v24, v22
	s_cbranch_execz .LBB23_253
; %bb.252:
	v_subrev_nc_u32_e32 v25, s23, v24
	v_add_co_u32 v0, vcc_lo, 0x3c00, v0
	v_add_co_ci_u32_e32 v1, vcc_lo, 0, v1, vcc_lo
	s_delay_alu instid0(VALU_DEP_3) | instskip(NEXT) | instid1(VALU_DEP_1)
	v_ashrrev_i32_e32 v26, 31, v25
	v_lshlrev_b64 v[25:26], 2, v[25:26]
	s_delay_alu instid0(VALU_DEP_1) | instskip(NEXT) | instid1(VALU_DEP_2)
	v_add_co_u32 v18, vcc_lo, v18, v25
	v_add_co_ci_u32_e32 v19, vcc_lo, v19, v26, vcc_lo
	v_cmp_gt_i32_e32 vcc_lo, s23, v24
	s_delay_alu instid0(VALU_DEP_2)
	v_dual_cndmask_b32 v1, v19, v1 :: v_dual_cndmask_b32 v0, v18, v0
	global_load_b32 v23, v[0:1], off
.LBB23_253:
	s_or_b32 exec_lo, exec_lo, s0
	v_lshlrev_b32_e32 v0, 4, v16
	s_waitcnt vmcnt(13)
	ds_store_2addr_stride64_b32 v15, v2, v3 offset0:4 offset1:8
	s_waitcnt vmcnt(11)
	ds_store_2addr_stride64_b32 v15, v4, v5 offset0:12 offset1:16
	;; [unrolled: 2-line block ×4, first 2 shown]
	s_lshl_b32 s1, s23, 2
	s_mov_b32 s0, exec_lo
	s_waitcnt vmcnt(5)
	ds_store_2addr_stride64_b32 v15, v10, v11 offset0:36 offset1:40
	s_waitcnt vmcnt(3)
	ds_store_2addr_stride64_b32 v15, v12, v13 offset0:44 offset1:48
	;; [unrolled: 2-line block ×4, first 2 shown]
	v_min_i32_e32 v1, v22, v0
	s_waitcnt lgkmcnt(0)
	s_waitcnt_vscnt null, 0x0
	s_barrier
	buffer_gl0_inv
	v_sub_nc_u32_e32 v0, v1, v17
	v_min_i32_e32 v2, s23, v1
	s_delay_alu instid0(VALU_DEP_2) | instskip(NEXT) | instid1(VALU_DEP_1)
	v_max_i32_e32 v0, 0, v0
	v_cmpx_lt_i32_e64 v0, v2
	s_cbranch_execz .LBB23_257
; %bb.254:
	v_lshlrev_b32_e32 v3, 2, v1
	s_mov_b32 s2, 0
	s_delay_alu instid0(VALU_DEP_1)
	v_add3_u32 v3, s1, v3, 0x400
	.p2align	6
.LBB23_255:                             ; =>This Inner Loop Header: Depth=1
	v_add_nc_u32_e32 v4, v2, v0
	s_delay_alu instid0(VALU_DEP_1) | instskip(NEXT) | instid1(VALU_DEP_1)
	v_ashrrev_i32_e32 v4, 1, v4
	v_not_b32_e32 v5, v4
	v_lshlrev_b32_e32 v6, 2, v4
	v_add_nc_u32_e32 v7, 1, v4
	s_delay_alu instid0(VALU_DEP_3)
	v_lshl_add_u32 v5, v5, 2, v3
	ds_load_b32 v6, v6 offset:1024
	ds_load_b32 v5, v5
	s_waitcnt lgkmcnt(0)
	v_cmp_lt_i32_e32 vcc_lo, v5, v6
	v_cndmask_b32_e32 v2, v2, v4, vcc_lo
	v_cndmask_b32_e32 v0, v7, v0, vcc_lo
	s_delay_alu instid0(VALU_DEP_1) | instskip(SKIP_1) | instid1(SALU_CYCLE_1)
	v_cmp_ge_i32_e32 vcc_lo, v0, v2
	s_or_b32 s2, vcc_lo, s2
	s_and_not1_b32 exec_lo, exec_lo, s2
	s_cbranch_execnz .LBB23_255
; %bb.256:
	s_or_b32 exec_lo, exec_lo, s2
.LBB23_257:
	s_delay_alu instid0(SALU_CYCLE_1) | instskip(SKIP_3) | instid1(VALU_DEP_2)
	s_or_b32 exec_lo, exec_lo, s0
	v_sub_nc_u32_e32 v4, v1, v0
	v_mov_b32_e32 v3, 0
	s_mov_b32 s2, exec_lo
	v_cmpx_lt_i32_e64 v4, v17
	s_cbranch_execz .LBB23_292
; %bb.258:
	v_lshl_add_u32 v5, v4, 2, s1
	v_mov_b32_e32 v2, 0
	v_mov_b32_e32 v6, v0
	s_mov_b32 s0, exec_lo
	ds_load_b32 v3, v5 offset:1024
	v_cmpx_lt_i32_e32 0, v0
	s_cbranch_execnz .LBB23_268
; %bb.259:
	s_or_b32 exec_lo, exec_lo, s0
	s_delay_alu instid0(SALU_CYCLE_1)
	s_mov_b32 s0, exec_lo
	v_cmpx_lt_i32_e64 v2, v6
	s_cbranch_execnz .LBB23_269
.LBB23_260:
	s_or_b32 exec_lo, exec_lo, s0
	s_delay_alu instid0(SALU_CYCLE_1)
	s_mov_b32 s0, exec_lo
	v_cmpx_lt_i32_e64 v2, v6
	s_cbranch_execnz .LBB23_270
.LBB23_261:
	s_or_b32 exec_lo, exec_lo, s0
	s_delay_alu instid0(SALU_CYCLE_1)
	s_mov_b32 s0, exec_lo
	v_cmpx_lt_i32_e64 v2, v6
	s_cbranch_execnz .LBB23_271
.LBB23_262:
	s_or_b32 exec_lo, exec_lo, s0
	s_delay_alu instid0(SALU_CYCLE_1)
	s_mov_b32 s0, exec_lo
	v_cmpx_lt_i32_e64 v2, v6
	s_cbranch_execnz .LBB23_272
	s_branch .LBB23_275
.LBB23_263:
	v_add_nc_u32_e32 v5, 1, v4
	v_lshlrev_b32_e32 v6, 2, v4
	s_delay_alu instid0(VALU_DEP_2)
	v_mov_b32_e32 v4, v5
	ds_store_b32 v6, v24 offset:19456
	s_or_b32 exec_lo, exec_lo, s5
	s_and_saveexec_b32 s5, s6
	s_cbranch_execz .LBB23_219
.LBB23_264:
	v_lshlrev_b32_e32 v5, 2, v4
	v_add_nc_u32_e32 v4, 1, v4
	ds_store_b32 v5, v23 offset:19456
	s_or_b32 exec_lo, exec_lo, s5
	s_and_saveexec_b32 s5, s4
	s_cbranch_execz .LBB23_220
.LBB23_265:
	v_lshlrev_b32_e32 v5, 2, v4
	v_add_nc_u32_e32 v4, 1, v4
	ds_store_b32 v5, v25 offset:19456
	s_or_b32 exec_lo, exec_lo, s5
	s_and_saveexec_b32 s4, s3
	s_cbranch_execz .LBB23_221
.LBB23_266:
	v_lshlrev_b32_e32 v5, 2, v4
	v_add_nc_u32_e32 v4, 1, v4
	ds_store_b32 v5, v26 offset:19456
	s_or_b32 exec_lo, exec_lo, s4
	s_and_saveexec_b32 s3, s2
	s_cbranch_execz .LBB23_222
.LBB23_267:
	v_lshlrev_b32_e32 v5, 2, v4
	v_add_nc_u32_e32 v4, 1, v4
	ds_store_b32 v5, v27 offset:19456
	s_or_b32 exec_lo, exec_lo, s3
	s_and_saveexec_b32 s2, s1
	s_cbranch_execnz .LBB23_223
	s_branch .LBB23_224
.LBB23_268:
	v_mul_lo_u32 v2, 0x1ff, v0
	s_delay_alu instid0(VALU_DEP_1) | instskip(NEXT) | instid1(VALU_DEP_1)
	v_ashrrev_i32_e32 v6, 9, v2
	v_lshlrev_b32_e32 v2, 2, v6
	ds_load_b32 v2, v2 offset:1024
	s_waitcnt lgkmcnt(0)
	v_cmp_lt_i32_e32 vcc_lo, v2, v3
	v_dual_cndmask_b32 v6, v6, v0 :: v_dual_add_nc_u32 v7, 1, v6
	s_delay_alu instid0(VALU_DEP_1) | instskip(SKIP_1) | instid1(SALU_CYCLE_1)
	v_cndmask_b32_e32 v2, 0, v7, vcc_lo
	s_or_b32 exec_lo, exec_lo, s0
	s_mov_b32 s0, exec_lo
	s_delay_alu instid0(VALU_DEP_1)
	v_cmpx_lt_i32_e64 v2, v6
	s_cbranch_execz .LBB23_260
.LBB23_269:
	v_sub_nc_u32_e32 v7, v2, v6
	s_delay_alu instid0(VALU_DEP_1) | instskip(NEXT) | instid1(VALU_DEP_1)
	v_lshl_add_u32 v7, v6, 7, v7
	v_ashrrev_i32_e32 v7, 7, v7
	s_delay_alu instid0(VALU_DEP_1) | instskip(SKIP_4) | instid1(VALU_DEP_1)
	v_lshlrev_b32_e32 v8, 2, v7
	ds_load_b32 v8, v8 offset:1024
	s_waitcnt lgkmcnt(0)
	v_cmp_lt_i32_e32 vcc_lo, v8, v3
	v_dual_cndmask_b32 v6, v7, v6 :: v_dual_add_nc_u32 v9, 1, v7
	v_cndmask_b32_e32 v2, v2, v9, vcc_lo
	s_or_b32 exec_lo, exec_lo, s0
	s_delay_alu instid0(SALU_CYCLE_1) | instskip(NEXT) | instid1(VALU_DEP_1)
	s_mov_b32 s0, exec_lo
	v_cmpx_lt_i32_e64 v2, v6
	s_cbranch_execz .LBB23_261
.LBB23_270:
	v_sub_nc_u32_e32 v7, v2, v6
	s_delay_alu instid0(VALU_DEP_1) | instskip(NEXT) | instid1(VALU_DEP_1)
	v_lshl_add_u32 v7, v6, 5, v7
	v_ashrrev_i32_e32 v7, 5, v7
	s_delay_alu instid0(VALU_DEP_1) | instskip(SKIP_4) | instid1(VALU_DEP_1)
	v_lshlrev_b32_e32 v8, 2, v7
	ds_load_b32 v8, v8 offset:1024
	s_waitcnt lgkmcnt(0)
	v_cmp_lt_i32_e32 vcc_lo, v8, v3
	v_dual_cndmask_b32 v6, v7, v6 :: v_dual_add_nc_u32 v9, 1, v7
	v_cndmask_b32_e32 v2, v2, v9, vcc_lo
	s_or_b32 exec_lo, exec_lo, s0
	s_delay_alu instid0(SALU_CYCLE_1) | instskip(NEXT) | instid1(VALU_DEP_1)
	s_mov_b32 s0, exec_lo
	v_cmpx_lt_i32_e64 v2, v6
	s_cbranch_execz .LBB23_262
.LBB23_271:
	v_sub_nc_u32_e32 v7, v2, v6
	s_delay_alu instid0(VALU_DEP_1) | instskip(NEXT) | instid1(VALU_DEP_1)
	v_lshl_add_u32 v7, v6, 4, v7
	v_ashrrev_i32_e32 v7, 4, v7
	s_delay_alu instid0(VALU_DEP_1) | instskip(SKIP_4) | instid1(VALU_DEP_1)
	v_lshlrev_b32_e32 v8, 2, v7
	ds_load_b32 v8, v8 offset:1024
	s_waitcnt lgkmcnt(0)
	v_cmp_lt_i32_e32 vcc_lo, v8, v3
	v_dual_cndmask_b32 v6, v7, v6 :: v_dual_add_nc_u32 v9, 1, v7
	v_cndmask_b32_e32 v2, v2, v9, vcc_lo
	s_or_b32 exec_lo, exec_lo, s0
	s_delay_alu instid0(SALU_CYCLE_1) | instskip(NEXT) | instid1(VALU_DEP_1)
	s_mov_b32 s0, exec_lo
	v_cmpx_lt_i32_e64 v2, v6
	s_cbranch_execz .LBB23_275
.LBB23_272:
	s_mov_b32 s3, 0
.LBB23_273:                             ; =>This Inner Loop Header: Depth=1
	v_sub_nc_u32_e32 v7, v2, v6
	s_delay_alu instid0(VALU_DEP_1) | instskip(NEXT) | instid1(VALU_DEP_1)
	v_lshl_add_u32 v7, v6, 1, v7
	v_ashrrev_i32_e32 v7, 1, v7
	s_delay_alu instid0(VALU_DEP_1) | instskip(SKIP_4) | instid1(VALU_DEP_1)
	v_lshlrev_b32_e32 v8, 2, v7
	ds_load_b32 v8, v8 offset:1024
	s_waitcnt lgkmcnt(0)
	v_cmp_lt_i32_e32 vcc_lo, v8, v3
	v_dual_cndmask_b32 v6, v7, v6 :: v_dual_add_nc_u32 v9, 1, v7
	v_cndmask_b32_e32 v2, v2, v9, vcc_lo
	s_delay_alu instid0(VALU_DEP_1) | instskip(SKIP_1) | instid1(SALU_CYCLE_1)
	v_cmp_ge_i32_e32 vcc_lo, v2, v6
	s_or_b32 s3, vcc_lo, s3
	s_and_not1_b32 exec_lo, exec_lo, s3
	s_cbranch_execnz .LBB23_273
; %bb.274:
	s_or_b32 exec_lo, exec_lo, s3
.LBB23_275:
	s_delay_alu instid0(SALU_CYCLE_1)
	s_or_b32 exec_lo, exec_lo, s0
	v_dual_mov_b32 v6, 0 :: v_dual_add_nc_u32 v5, 0x400, v5
	v_mov_b32_e32 v7, v4
	s_mov_b32 s0, exec_lo
	v_cmpx_lt_i32_e32 0, v4
	s_cbranch_execnz .LBB23_280
; %bb.276:
	s_or_b32 exec_lo, exec_lo, s0
	s_delay_alu instid0(SALU_CYCLE_1)
	s_mov_b32 s0, exec_lo
	v_cmpx_lt_i32_e64 v6, v7
	s_cbranch_execnz .LBB23_281
.LBB23_277:
	s_or_b32 exec_lo, exec_lo, s0
	s_delay_alu instid0(SALU_CYCLE_1)
	s_mov_b32 s0, exec_lo
	v_cmpx_lt_i32_e64 v6, v7
	s_cbranch_execnz .LBB23_282
.LBB23_278:
	s_or_b32 exec_lo, exec_lo, s0
	s_delay_alu instid0(SALU_CYCLE_1)
	s_mov_b32 s0, exec_lo
	v_cmpx_lt_i32_e64 v6, v7
	s_cbranch_execnz .LBB23_283
.LBB23_279:
	s_or_b32 exec_lo, exec_lo, s0
	s_delay_alu instid0(SALU_CYCLE_1)
	s_mov_b32 s0, exec_lo
	v_cmpx_lt_i32_e64 v6, v7
	s_cbranch_execnz .LBB23_284
	s_branch .LBB23_287
.LBB23_280:
	v_mul_lo_u32 v6, 0x1ff, v4
	s_delay_alu instid0(VALU_DEP_1) | instskip(NEXT) | instid1(VALU_DEP_1)
	v_ashrrev_i32_e32 v7, 9, v6
	v_lshl_add_u32 v6, v7, 2, s1
	ds_load_b32 v6, v6 offset:1024
	s_waitcnt lgkmcnt(0)
	v_cmp_lt_i32_e32 vcc_lo, v6, v3
	v_dual_cndmask_b32 v7, v7, v4 :: v_dual_add_nc_u32 v8, 1, v7
	s_delay_alu instid0(VALU_DEP_1) | instskip(SKIP_1) | instid1(SALU_CYCLE_1)
	v_cndmask_b32_e32 v6, 0, v8, vcc_lo
	s_or_b32 exec_lo, exec_lo, s0
	s_mov_b32 s0, exec_lo
	s_delay_alu instid0(VALU_DEP_1)
	v_cmpx_lt_i32_e64 v6, v7
	s_cbranch_execz .LBB23_277
.LBB23_281:
	v_sub_nc_u32_e32 v8, v6, v7
	s_delay_alu instid0(VALU_DEP_1) | instskip(NEXT) | instid1(VALU_DEP_1)
	v_lshl_add_u32 v8, v7, 7, v8
	v_ashrrev_i32_e32 v8, 7, v8
	s_delay_alu instid0(VALU_DEP_1) | instskip(SKIP_4) | instid1(VALU_DEP_1)
	v_lshl_add_u32 v9, v8, 2, s1
	ds_load_b32 v9, v9 offset:1024
	s_waitcnt lgkmcnt(0)
	v_cmp_lt_i32_e32 vcc_lo, v9, v3
	v_dual_cndmask_b32 v7, v8, v7 :: v_dual_add_nc_u32 v10, 1, v8
	v_cndmask_b32_e32 v6, v6, v10, vcc_lo
	s_or_b32 exec_lo, exec_lo, s0
	s_delay_alu instid0(SALU_CYCLE_1) | instskip(NEXT) | instid1(VALU_DEP_1)
	s_mov_b32 s0, exec_lo
	v_cmpx_lt_i32_e64 v6, v7
	s_cbranch_execz .LBB23_278
.LBB23_282:
	v_sub_nc_u32_e32 v8, v6, v7
	s_delay_alu instid0(VALU_DEP_1) | instskip(NEXT) | instid1(VALU_DEP_1)
	v_lshl_add_u32 v8, v7, 5, v8
	v_ashrrev_i32_e32 v8, 5, v8
	s_delay_alu instid0(VALU_DEP_1) | instskip(SKIP_4) | instid1(VALU_DEP_1)
	v_lshl_add_u32 v9, v8, 2, s1
	ds_load_b32 v9, v9 offset:1024
	s_waitcnt lgkmcnt(0)
	v_cmp_lt_i32_e32 vcc_lo, v9, v3
	v_dual_cndmask_b32 v7, v8, v7 :: v_dual_add_nc_u32 v10, 1, v8
	v_cndmask_b32_e32 v6, v6, v10, vcc_lo
	s_or_b32 exec_lo, exec_lo, s0
	s_delay_alu instid0(SALU_CYCLE_1) | instskip(NEXT) | instid1(VALU_DEP_1)
	s_mov_b32 s0, exec_lo
	v_cmpx_lt_i32_e64 v6, v7
	s_cbranch_execz .LBB23_279
.LBB23_283:
	v_sub_nc_u32_e32 v8, v6, v7
	s_delay_alu instid0(VALU_DEP_1) | instskip(NEXT) | instid1(VALU_DEP_1)
	v_lshl_add_u32 v8, v7, 4, v8
	v_ashrrev_i32_e32 v8, 4, v8
	s_delay_alu instid0(VALU_DEP_1) | instskip(SKIP_4) | instid1(VALU_DEP_1)
	v_lshl_add_u32 v9, v8, 2, s1
	ds_load_b32 v9, v9 offset:1024
	s_waitcnt lgkmcnt(0)
	v_cmp_lt_i32_e32 vcc_lo, v9, v3
	v_dual_cndmask_b32 v7, v8, v7 :: v_dual_add_nc_u32 v10, 1, v8
	v_cndmask_b32_e32 v6, v6, v10, vcc_lo
	s_or_b32 exec_lo, exec_lo, s0
	s_delay_alu instid0(SALU_CYCLE_1) | instskip(NEXT) | instid1(VALU_DEP_1)
	s_mov_b32 s0, exec_lo
	v_cmpx_lt_i32_e64 v6, v7
	s_cbranch_execz .LBB23_287
.LBB23_284:
	s_add_i32 s4, s1, 0x400
	s_mov_b32 s3, 0
.LBB23_285:                             ; =>This Inner Loop Header: Depth=1
	v_sub_nc_u32_e32 v8, v6, v7
	s_delay_alu instid0(VALU_DEP_1) | instskip(NEXT) | instid1(VALU_DEP_1)
	v_lshl_add_u32 v8, v7, 1, v8
	v_ashrrev_i32_e32 v8, 1, v8
	s_delay_alu instid0(VALU_DEP_1) | instskip(SKIP_4) | instid1(VALU_DEP_1)
	v_lshl_add_u32 v9, v8, 2, s4
	ds_load_b32 v9, v9
	s_waitcnt lgkmcnt(0)
	v_cmp_lt_i32_e32 vcc_lo, v9, v3
	v_dual_cndmask_b32 v7, v8, v7 :: v_dual_add_nc_u32 v10, 1, v8
	v_cndmask_b32_e32 v6, v6, v10, vcc_lo
	s_delay_alu instid0(VALU_DEP_1) | instskip(SKIP_1) | instid1(SALU_CYCLE_1)
	v_cmp_ge_i32_e32 vcc_lo, v6, v7
	s_or_b32 s3, vcc_lo, s3
	s_and_not1_b32 exec_lo, exec_lo, s3
	s_cbranch_execnz .LBB23_285
; %bb.286:
	s_or_b32 exec_lo, exec_lo, s3
.LBB23_287:
	s_delay_alu instid0(SALU_CYCLE_1) | instskip(SKIP_4) | instid1(VALU_DEP_1)
	s_or_b32 exec_lo, exec_lo, s0
	v_sub_nc_u32_e32 v0, v0, v2
	v_sub_nc_u32_e32 v8, v4, v6
	s_mov_b32 s3, 0
	s_mov_b32 s0, exec_lo
	v_add_nc_u32_e32 v7, v8, v0
	s_delay_alu instid0(VALU_DEP_1) | instskip(NEXT) | instid1(VALU_DEP_1)
	v_ashrrev_i32_e32 v0, 1, v7
	v_max_i32_e32 v0, v0, v8
	s_delay_alu instid0(VALU_DEP_1) | instskip(NEXT) | instid1(VALU_DEP_1)
	v_add3_u32 v6, v6, v0, 1
	v_min_i32_e32 v6, v6, v17
	s_delay_alu instid0(VALU_DEP_1) | instskip(SKIP_1) | instid1(VALU_DEP_2)
	v_sub_nc_u32_e32 v6, v6, v4
	v_mov_b32_e32 v4, 0
	v_cmpx_lt_i32_e32 0, v6
	s_cbranch_execz .LBB23_291
; %bb.288:
	v_mov_b32_e32 v4, 0
.LBB23_289:                             ; =>This Inner Loop Header: Depth=1
	s_delay_alu instid0(VALU_DEP_1) | instskip(NEXT) | instid1(VALU_DEP_1)
	v_add_nc_u32_e32 v9, v4, v6
	v_ashrrev_i32_e32 v9, 1, v9
	s_delay_alu instid0(VALU_DEP_1)
	v_lshl_add_u32 v10, v9, 2, v5
	v_add_nc_u32_e32 v11, 1, v9
	ds_load_b32 v10, v10
	s_waitcnt lgkmcnt(0)
	v_cmp_gt_i32_e32 vcc_lo, v10, v3
	v_cndmask_b32_e32 v4, v11, v4, vcc_lo
	v_cndmask_b32_e32 v6, v6, v9, vcc_lo
	s_delay_alu instid0(VALU_DEP_1) | instskip(SKIP_1) | instid1(SALU_CYCLE_1)
	v_cmp_ge_i32_e32 vcc_lo, v4, v6
	s_or_b32 s3, vcc_lo, s3
	s_and_not1_b32 exec_lo, exec_lo, s3
	s_cbranch_execnz .LBB23_289
; %bb.290:
	s_or_b32 exec_lo, exec_lo, s3
.LBB23_291:
	s_delay_alu instid0(SALU_CYCLE_1) | instskip(SKIP_2) | instid1(VALU_DEP_1)
	s_or_b32 exec_lo, exec_lo, s0
	s_waitcnt lgkmcnt(0)
	v_add_nc_u32_e32 v3, v4, v8
	v_min_i32_e32 v4, v3, v0
	v_cmp_lt_i32_e32 vcc_lo, v0, v3
	s_delay_alu instid0(VALU_DEP_2) | instskip(SKIP_1) | instid1(VALU_DEP_2)
	v_sub_nc_u32_e32 v5, v7, v4
	v_add_nc_u32_e32 v4, 1, v4
	v_add_nc_u32_e32 v0, v5, v2
	s_delay_alu instid0(VALU_DEP_2) | instskip(NEXT) | instid1(VALU_DEP_1)
	v_cmp_eq_u32_e64 s0, v5, v4
	s_and_b32 s0, vcc_lo, s0
	s_delay_alu instid0(SALU_CYCLE_1)
	v_cndmask_b32_e64 v3, 0, 1, s0
.LBB23_292:
	s_or_b32 exec_lo, exec_lo, s2
	s_delay_alu instid0(VALU_DEP_1)
	v_add_nc_u32_e32 v1, v3, v1
	s_lshl_b32 s0, s23, 16
	v_add_nc_u32_e32 v2, -1, v16
	v_or_b32_e32 v3, s0, v17
	v_cmp_eq_u32_e64 s0, 0, v16
	v_sub_nc_u32_e32 v1, v1, v0
	s_delay_alu instid0(VALU_DEP_2) | instskip(NEXT) | instid1(VALU_DEP_2)
	v_cndmask_b32_e64 v2, v2, 0xff, s0
	v_lshl_or_b32 v4, v0, 16, v1
	v_lshl_add_u32 v5, v1, 2, s1
	s_mov_b32 s1, exec_lo
	s_delay_alu instid0(VALU_DEP_3) | instskip(NEXT) | instid1(VALU_DEP_3)
	v_lshlrev_b32_e32 v2, 2, v2
	v_cndmask_b32_e64 v3, v4, v3, s0
	v_lshlrev_b32_e32 v4, 2, v0
	ds_store_b32 v2, v3
	v_mov_b32_e32 v3, v0
	s_waitcnt lgkmcnt(0)
	s_barrier
	buffer_gl0_inv
	ds_load_b32 v18, v4 offset:1024
	ds_load_b32 v2, v5 offset:1024
	ds_load_b32 v11, v15
	s_waitcnt lgkmcnt(2)
	v_mov_b32_e32 v17, v18
	s_waitcnt lgkmcnt(1)
	v_cmpx_ge_i32_e64 v2, v18
	s_cbranch_execz .LBB23_294
; %bb.293:
	ds_load_b32 v17, v4 offset:1028
	v_add_nc_u32_e32 v3, 1, v0
.LBB23_294:
	s_or_b32 exec_lo, exec_lo, s1
	v_dual_mov_b32 v5, v2 :: v_dual_add_nc_u32 v4, s23, v1
	s_mov_b32 s1, exec_lo
	v_cmpx_ge_i32_e64 v18, v2
	s_cbranch_execz .LBB23_296
; %bb.295:
	s_delay_alu instid0(VALU_DEP_2)
	v_lshlrev_b32_e32 v5, 2, v4
	v_add_nc_u32_e32 v4, 1, v4
	ds_load_b32 v5, v5 offset:1028
.LBB23_296:
	s_or_b32 exec_lo, exec_lo, s1
	s_waitcnt lgkmcnt(0)
	v_dual_mov_b32 v19, v17 :: v_dual_mov_b32 v6, v3
	s_mov_b32 s1, exec_lo
	v_cmpx_ge_i32_e64 v5, v17
	s_cbranch_execz .LBB23_298
; %bb.297:
	v_lshlrev_b32_e32 v6, 2, v3
	ds_load_b32 v19, v6 offset:1028
	v_add_nc_u32_e32 v6, 1, v3
.LBB23_298:
	s_or_b32 exec_lo, exec_lo, s1
	v_dual_mov_b32 v7, v5 :: v_dual_mov_b32 v8, v4
	s_mov_b32 s1, exec_lo
	v_cmpx_ge_i32_e64 v17, v5
	s_cbranch_execz .LBB23_300
; %bb.299:
	v_lshlrev_b32_e32 v7, 2, v4
	v_add_nc_u32_e32 v8, 1, v4
	ds_load_b32 v7, v7 offset:1028
.LBB23_300:
	s_or_b32 exec_lo, exec_lo, s1
	s_waitcnt lgkmcnt(0)
	v_dual_mov_b32 v20, v19 :: v_dual_mov_b32 v9, v6
	s_mov_b32 s1, exec_lo
	v_cmpx_ge_i32_e64 v7, v19
	s_cbranch_execz .LBB23_302
; %bb.301:
	v_lshlrev_b32_e32 v9, 2, v6
	ds_load_b32 v20, v9 offset:1028
	v_add_nc_u32_e32 v9, 1, v6
.LBB23_302:
	s_or_b32 exec_lo, exec_lo, s1
	v_mov_b32_e32 v10, v7
	v_mov_b32_e32 v12, v8
	s_mov_b32 s1, exec_lo
	v_cmpx_ge_i32_e64 v19, v7
	s_cbranch_execz .LBB23_304
; %bb.303:
	v_lshlrev_b32_e32 v10, 2, v8
	v_add_nc_u32_e32 v12, 1, v8
	ds_load_b32 v10, v10 offset:1028
.LBB23_304:
	s_or_b32 exec_lo, exec_lo, s1
	s_waitcnt lgkmcnt(0)
	v_mov_b32_e32 v21, v20
	v_mov_b32_e32 v13, v9
	s_mov_b32 s1, exec_lo
	v_cmpx_ge_i32_e64 v10, v20
	s_cbranch_execz .LBB23_306
; %bb.305:
	v_lshlrev_b32_e32 v13, 2, v9
	ds_load_b32 v21, v13 offset:1028
	v_add_nc_u32_e32 v13, 1, v9
.LBB23_306:
	s_or_b32 exec_lo, exec_lo, s1
	v_dual_mov_b32 v14, v10 :: v_dual_mov_b32 v33, v12
	s_mov_b32 s1, exec_lo
	v_cmpx_ge_i32_e64 v20, v10
	s_cbranch_execz .LBB23_308
; %bb.307:
	v_lshlrev_b32_e32 v14, 2, v12
	v_add_nc_u32_e32 v33, 1, v12
	ds_load_b32 v14, v14 offset:1028
.LBB23_308:
	s_or_b32 exec_lo, exec_lo, s1
	s_waitcnt lgkmcnt(0)
	v_mov_b32_e32 v22, v21
	v_mov_b32_e32 v34, v13
	s_mov_b32 s1, exec_lo
	v_cmpx_ge_i32_e64 v14, v21
	s_cbranch_execz .LBB23_310
; %bb.309:
	v_lshlrev_b32_e32 v22, 2, v13
	v_add_nc_u32_e32 v34, 1, v13
	ds_load_b32 v22, v22 offset:1028
.LBB23_310:
	s_or_b32 exec_lo, exec_lo, s1
	v_dual_mov_b32 v35, v14 :: v_dual_mov_b32 v36, v33
	s_mov_b32 s1, exec_lo
	v_cmpx_ge_i32_e64 v21, v14
	s_cbranch_execz .LBB23_312
; %bb.311:
	v_lshlrev_b32_e32 v23, 2, v33
	v_add_nc_u32_e32 v36, 1, v33
	ds_load_b32 v35, v23 offset:1028
.LBB23_312:
	s_or_b32 exec_lo, exec_lo, s1
	s_waitcnt lgkmcnt(0)
	v_mov_b32_e32 v23, v22
	v_mov_b32_e32 v37, v34
	s_mov_b32 s1, exec_lo
	v_cmpx_ge_i32_e64 v35, v22
	s_cbranch_execz .LBB23_314
; %bb.313:
	v_lshlrev_b32_e32 v23, 2, v34
	v_add_nc_u32_e32 v37, 1, v34
	ds_load_b32 v23, v23 offset:1028
.LBB23_314:
	s_or_b32 exec_lo, exec_lo, s1
	v_dual_mov_b32 v38, v35 :: v_dual_mov_b32 v39, v36
	s_mov_b32 s1, exec_lo
	v_cmpx_ge_i32_e64 v22, v35
	s_cbranch_execz .LBB23_316
; %bb.315:
	v_lshlrev_b32_e32 v24, 2, v36
	v_add_nc_u32_e32 v39, 1, v36
	ds_load_b32 v38, v24 offset:1028
.LBB23_316:
	s_or_b32 exec_lo, exec_lo, s1
	s_waitcnt lgkmcnt(0)
	v_mov_b32_e32 v24, v23
	v_mov_b32_e32 v40, v37
	s_mov_b32 s1, exec_lo
	v_cmpx_ge_i32_e64 v38, v23
	s_cbranch_execz .LBB23_318
; %bb.317:
	v_lshlrev_b32_e32 v24, 2, v37
	v_add_nc_u32_e32 v40, 1, v37
	ds_load_b32 v24, v24 offset:1028
.LBB23_318:
	s_or_b32 exec_lo, exec_lo, s1
	v_dual_mov_b32 v42, v38 :: v_dual_mov_b32 v41, v39
	s_mov_b32 s1, exec_lo
	v_cmpx_ge_i32_e64 v23, v38
	s_cbranch_execz .LBB23_320
; %bb.319:
	v_lshlrev_b32_e32 v25, 2, v39
	v_add_nc_u32_e32 v41, 1, v39
	ds_load_b32 v42, v25 offset:1028
.LBB23_320:
	s_or_b32 exec_lo, exec_lo, s1
	s_waitcnt lgkmcnt(0)
	v_mov_b32_e32 v25, v24
	v_mov_b32_e32 v43, v40
	s_mov_b32 s1, exec_lo
	v_cmpx_ge_i32_e64 v42, v24
	s_cbranch_execz .LBB23_322
; %bb.321:
	v_lshlrev_b32_e32 v25, 2, v40
	v_add_nc_u32_e32 v43, 1, v40
	ds_load_b32 v25, v25 offset:1028
.LBB23_322:
	s_or_b32 exec_lo, exec_lo, s1
	v_dual_mov_b32 v44, v42 :: v_dual_mov_b32 v45, v41
	s_mov_b32 s1, exec_lo
	v_cmpx_ge_i32_e64 v24, v42
	s_cbranch_execz .LBB23_324
; %bb.323:
	v_lshlrev_b32_e32 v26, 2, v41
	v_add_nc_u32_e32 v45, 1, v41
	ds_load_b32 v44, v26 offset:1028
.LBB23_324:
	s_or_b32 exec_lo, exec_lo, s1
	s_waitcnt lgkmcnt(0)
	v_mov_b32_e32 v26, v25
	v_mov_b32_e32 v46, v43
	s_mov_b32 s1, exec_lo
	v_cmpx_ge_i32_e64 v44, v25
	s_cbranch_execz .LBB23_326
; %bb.325:
	v_lshlrev_b32_e32 v26, 2, v43
	v_add_nc_u32_e32 v46, 1, v43
	ds_load_b32 v26, v26 offset:1028
.LBB23_326:
	s_or_b32 exec_lo, exec_lo, s1
	v_dual_mov_b32 v47, v44 :: v_dual_mov_b32 v48, v45
	s_mov_b32 s1, exec_lo
	v_cmpx_ge_i32_e64 v25, v44
	s_cbranch_execz .LBB23_328
; %bb.327:
	v_lshlrev_b32_e32 v27, 2, v45
	v_add_nc_u32_e32 v48, 1, v45
	ds_load_b32 v47, v27 offset:1028
.LBB23_328:
	s_or_b32 exec_lo, exec_lo, s1
	s_waitcnt lgkmcnt(0)
	v_mov_b32_e32 v27, v26
	v_mov_b32_e32 v49, v46
	s_mov_b32 s1, exec_lo
	v_cmpx_ge_i32_e64 v47, v26
	s_cbranch_execz .LBB23_330
; %bb.329:
	v_lshlrev_b32_e32 v27, 2, v46
	v_add_nc_u32_e32 v49, 1, v46
	ds_load_b32 v27, v27 offset:1028
.LBB23_330:
	s_or_b32 exec_lo, exec_lo, s1
	v_dual_mov_b32 v50, v47 :: v_dual_mov_b32 v51, v48
	s_mov_b32 s1, exec_lo
	v_cmpx_ge_i32_e64 v26, v47
	s_cbranch_execz .LBB23_332
; %bb.331:
	v_lshlrev_b32_e32 v28, 2, v48
	v_add_nc_u32_e32 v51, 1, v48
	ds_load_b32 v50, v28 offset:1028
.LBB23_332:
	s_or_b32 exec_lo, exec_lo, s1
	s_waitcnt lgkmcnt(0)
	v_mov_b32_e32 v28, v27
	v_mov_b32_e32 v52, v49
	s_mov_b32 s1, exec_lo
	v_cmpx_ge_i32_e64 v50, v27
	s_cbranch_execz .LBB23_334
; %bb.333:
	v_lshlrev_b32_e32 v28, 2, v49
	v_add_nc_u32_e32 v52, 1, v49
	ds_load_b32 v28, v28 offset:1028
.LBB23_334:
	s_or_b32 exec_lo, exec_lo, s1
	v_dual_mov_b32 v53, v50 :: v_dual_mov_b32 v54, v51
	s_mov_b32 s1, exec_lo
	v_cmpx_ge_i32_e64 v27, v50
	s_cbranch_execz .LBB23_336
; %bb.335:
	v_lshlrev_b32_e32 v29, 2, v51
	v_add_nc_u32_e32 v54, 1, v51
	ds_load_b32 v53, v29 offset:1028
.LBB23_336:
	s_or_b32 exec_lo, exec_lo, s1
	s_waitcnt lgkmcnt(0)
	v_mov_b32_e32 v29, v28
	v_mov_b32_e32 v55, v52
	s_mov_b32 s1, exec_lo
	v_cmpx_ge_i32_e64 v53, v28
	s_cbranch_execz .LBB23_338
; %bb.337:
	v_lshlrev_b32_e32 v29, 2, v52
	v_add_nc_u32_e32 v55, 1, v52
	ds_load_b32 v29, v29 offset:1028
.LBB23_338:
	s_or_b32 exec_lo, exec_lo, s1
	v_dual_mov_b32 v56, v53 :: v_dual_mov_b32 v57, v54
	s_mov_b32 s1, exec_lo
	v_cmpx_ge_i32_e64 v28, v53
	s_cbranch_execz .LBB23_340
; %bb.339:
	v_lshlrev_b32_e32 v30, 2, v54
	v_add_nc_u32_e32 v57, 1, v54
	ds_load_b32 v56, v30 offset:1028
.LBB23_340:
	s_or_b32 exec_lo, exec_lo, s1
	s_waitcnt lgkmcnt(0)
	v_mov_b32_e32 v30, v29
	v_mov_b32_e32 v58, v55
	s_mov_b32 s1, exec_lo
	v_cmpx_ge_i32_e64 v56, v29
	s_cbranch_execz .LBB23_342
; %bb.341:
	v_lshlrev_b32_e32 v30, 2, v55
	v_add_nc_u32_e32 v58, 1, v55
	ds_load_b32 v30, v30 offset:1028
.LBB23_342:
	s_or_b32 exec_lo, exec_lo, s1
	v_dual_mov_b32 v60, v56 :: v_dual_mov_b32 v59, v57
	s_mov_b32 s1, exec_lo
	v_cmpx_ge_i32_e64 v29, v56
	s_cbranch_execz .LBB23_344
; %bb.343:
	v_lshlrev_b32_e32 v31, 2, v57
	v_add_nc_u32_e32 v59, 1, v57
	ds_load_b32 v60, v31 offset:1028
.LBB23_344:
	s_or_b32 exec_lo, exec_lo, s1
	s_waitcnt lgkmcnt(0)
	v_mov_b32_e32 v31, v30
	v_mov_b32_e32 v61, v58
	s_mov_b32 s1, exec_lo
	v_cmpx_ge_i32_e64 v60, v30
	s_cbranch_execz .LBB23_346
; %bb.345:
	v_lshlrev_b32_e32 v31, 2, v58
	v_add_nc_u32_e32 v61, 1, v58
	ds_load_b32 v31, v31 offset:1028
.LBB23_346:
	s_or_b32 exec_lo, exec_lo, s1
	v_dual_mov_b32 v63, v60 :: v_dual_mov_b32 v62, v59
	s_mov_b32 s1, exec_lo
	v_cmpx_ge_i32_e64 v30, v60
	s_cbranch_execz .LBB23_348
; %bb.347:
	v_lshlrev_b32_e32 v32, 2, v59
	v_add_nc_u32_e32 v62, 1, v59
	ds_load_b32 v63, v32 offset:1028
.LBB23_348:
	s_or_b32 exec_lo, exec_lo, s1
	s_waitcnt lgkmcnt(0)
	v_mov_b32_e32 v32, v31
	v_mov_b32_e32 v64, v61
	s_mov_b32 s1, exec_lo
	v_cmpx_ge_i32_e64 v63, v31
	s_cbranch_execz .LBB23_350
; %bb.349:
	v_lshlrev_b32_e32 v32, 2, v61
	v_add_nc_u32_e32 v64, 1, v61
	ds_load_b32 v32, v32 offset:1028
.LBB23_350:
	s_or_b32 exec_lo, exec_lo, s1
	v_dual_mov_b32 v66, v63 :: v_dual_mov_b32 v65, v62
	s_mov_b32 s1, exec_lo
	v_cmpx_ge_i32_e64 v31, v63
	s_cbranch_execz .LBB23_352
; %bb.351:
	v_lshlrev_b32_e32 v65, 2, v62
	ds_load_b32 v66, v65 offset:1028
	v_add_nc_u32_e32 v65, 1, v62
.LBB23_352:
	s_or_b32 exec_lo, exec_lo, s1
	v_and_b32_e32 v67, 0xffff, v11
	v_ashrrev_i32_e32 v11, 16, v11
	v_cmp_ne_u32_e64 s1, v63, v31
	v_cmp_ne_u32_e64 s17, v38, v23
	v_cmp_ne_u32_e64 s2, v60, v30
	v_add_nc_u32_e32 v63, s23, v67
	v_cmp_ge_i32_e64 s14, v34, v11
	v_cmp_ge_i32_e64 s18, v9, v11
	;; [unrolled: 1-line block ×3, first 2 shown]
	v_cmp_gt_i32_e64 s22, v67, v1
	v_cmp_ge_i32_e64 s15, v36, v63
	v_cmp_ge_i32_e64 s19, v12, v63
	;; [unrolled: 1-line block ×5, first 2 shown]
	s_or_b32 s38, s14, s15
	v_cmp_ge_i32_e64 s14, v13, v11
	v_cmp_ge_i32_e64 s15, v33, v63
	s_or_b32 s40, s18, s19
	s_or_b32 s23, s20, s21
	v_cmp_ge_i32_e64 s19, v3, v11
	v_cmp_ge_i32_e64 s20, v4, v63
	s_or_b32 s39, s14, s15
	v_cmp_ne_u32_e64 s15, v7, v19
	v_cmp_gt_i32_e64 s21, v11, v0
	v_cmp_ne_u32_e64 s18, v5, v17
	s_or_b32 s19, s19, s20
	v_cmp_ge_i32_e64 s4, v61, v11
	s_or_b32 s23, s15, s23
	v_cmp_eq_u32_e64 s15, v2, v18
	s_and_b32 s20, s21, s22
	v_cmp_ge_i32_e64 s5, v58, v11
	v_cmp_ge_i32_e64 s7, v62, v63
	;; [unrolled: 1-line block ×5, first 2 shown]
	s_or_b32 s37, s12, s13
	v_cmp_ne_u32_e64 s13, v14, v21
	v_cmp_ne_u32_e64 s14, v10, v20
	s_or_b32 s18, s18, s19
	s_and_b32 s15, s20, s15
	v_cndmask_b32_e64 v0, 4, 0, s23
	v_cndmask_b32_e64 v1, 2, 0, s18
	v_cndmask_b32_e64 v2, 0, 1, s15
	v_cmp_ge_i32_e64 s3, v64, v11
	v_cmp_ge_i32_e64 s6, v65, v63
	s_or_b32 s27, s4, s7
	s_or_b32 s31, s5, s8
	;; [unrolled: 1-line block ×3, first 2 shown]
	v_cmp_ge_i32_e64 s7, v49, v11
	v_cmp_ge_i32_e64 s8, v51, v63
	;; [unrolled: 1-line block ×4, first 2 shown]
	v_cmp_ne_u32_e64 s12, v35, v22
	s_or_b32 s13, s13, s39
	s_or_b32 s14, s14, s40
	v_cndmask_b32_e64 v3, 16, 0, s13
	v_cndmask_b32_e64 v4, 8, 0, s14
	v_or3_b32 v0, v1, v2, v0
	s_or_b32 s26, s3, s6
	v_cmp_ge_i32_e64 s5, v52, v11
	v_cmp_ge_i32_e64 s6, v54, v63
	v_cmp_ge_i32_e64 s11, v40, v11
	v_cmp_ge_i32_e64 s16, v41, v63
	s_or_b32 s35, s7, s8
	s_or_b32 s36, s9, s10
	v_cmp_ge_i32_e64 s8, v43, v11
	v_cmp_ge_i32_e64 s9, v45, v63
	v_cmp_ne_u32_e64 s10, v42, v24
	s_or_b32 s17, s17, s37
	s_or_b32 s12, s12, s38
	v_cndmask_b32_e64 v1, 64, 0, s17
	v_cndmask_b32_e64 v2, 32, 0, s12
	v_or3_b32 v0, v0, v4, v3
	s_or_b32 s34, s5, s6
	v_cmp_ne_u32_e64 s6, v47, v26
	s_or_b32 s11, s11, s16
	v_cmp_ne_u32_e64 s7, v44, v25
	s_or_b32 s8, s8, s9
	s_or_b32 s9, s10, s11
	v_or3_b32 v38, v0, v2, v1
	v_cndmask_b32_e64 v3, 0x80, 0, s9
	v_cmp_ne_u32_e64 s4, v53, v28
	s_or_b32 s6, s6, s36
	v_cmp_ne_u32_e64 s5, v50, v27
	v_cndmask_b32_e64 v0, 0x200, 0, s6
	s_or_b32 s6, s7, s8
	v_or_b32_e32 v37, v3, v38
	v_cndmask_b32_e64 v1, 0x100, 0, s6
	s_or_b32 s4, s4, s34
	v_cmp_ne_u32_e64 s3, v56, v29
	v_cndmask_b32_e64 v2, 0x800, 0, s4
	s_or_b32 s4, s5, s35
	v_or3_b32 v36, v1, v0, v37
	v_cndmask_b32_e64 v3, 0x400, 0, s4
	s_or_b32 s2, s2, s31
	s_waitcnt lgkmcnt(0)
	v_cmp_ne_u32_e32 vcc_lo, v66, v32
	v_cndmask_b32_e64 v0, 0x2000, 0, s2
	s_or_b32 s2, s3, s33
	v_or3_b32 v35, v3, v2, v36
	v_cndmask_b32_e64 v1, 0x1000, 0, s2
	s_or_b32 s2, vcc_lo, s26
	s_or_b32 s1, s1, s27
	v_cndmask_b32_e64 v2, 0x8000, 0, s2
	v_cndmask_b32_e64 v3, 0x4000, 0, s1
	v_or3_b32 v34, v1, v0, v35
	v_mov_b32_e32 v9, 0
	v_mbcnt_lo_u32_b32 v39, -1, 0
	s_mov_b32 s1, -1
	s_cmp_lg_u32 s30, 0
	v_or3_b32 v33, v3, v2, v34
	s_barrier
	buffer_gl0_inv
	v_bcnt_u32_b32 v8, v33, 0
	s_cbranch_scc0 .LBB23_414
; %bb.353:
	s_delay_alu instid0(VALU_DEP_1)
	v_dual_mov_b32 v3, v8 :: v_dual_and_b32 v4, 15, v39
	v_mov_b32_dpp v6, v8 row_shr:1 row_mask:0xf bank_mask:0xf
	v_mov_b32_dpp v5, v9 row_shr:1 row_mask:0xf bank_mask:0xf
	v_mov_b32_e32 v2, v9
	v_dual_mov_b32 v0, v8 :: v_dual_mov_b32 v1, v9
	s_mov_b32 s1, exec_lo
	v_cmpx_ne_u32_e32 0, v4
; %bb.354:
	v_add_co_u32 v3, s2, v6, v8
	s_delay_alu instid0(VALU_DEP_1) | instskip(NEXT) | instid1(VALU_DEP_2)
	v_add_co_ci_u32_e64 v0, null, 0, 0, s2
	v_add_co_u32 v1, vcc_lo, 0, v3
	s_delay_alu instid0(VALU_DEP_2) | instskip(NEXT) | instid1(VALU_DEP_2)
	v_add_co_ci_u32_e32 v2, vcc_lo, v5, v0, vcc_lo
	v_mov_b32_e32 v0, v1
	s_delay_alu instid0(VALU_DEP_2)
	v_mov_b32_e32 v1, v2
; %bb.355:
	s_or_b32 exec_lo, exec_lo, s1
	v_mov_b32_dpp v6, v3 row_shr:2 row_mask:0xf bank_mask:0xf
	v_mov_b32_dpp v5, v2 row_shr:2 row_mask:0xf bank_mask:0xf
	s_mov_b32 s1, exec_lo
	v_cmpx_lt_u32_e32 1, v4
; %bb.356:
	s_delay_alu instid0(VALU_DEP_3) | instskip(SKIP_1) | instid1(VALU_DEP_2)
	v_add_co_u32 v3, vcc_lo, v0, v6
	v_add_co_ci_u32_e32 v0, vcc_lo, 0, v1, vcc_lo
	v_add_co_u32 v1, vcc_lo, 0, v3
	s_delay_alu instid0(VALU_DEP_2) | instskip(NEXT) | instid1(VALU_DEP_2)
	v_add_co_ci_u32_e32 v2, vcc_lo, v5, v0, vcc_lo
	v_mov_b32_e32 v0, v1
	s_delay_alu instid0(VALU_DEP_2)
	v_mov_b32_e32 v1, v2
; %bb.357:
	s_or_b32 exec_lo, exec_lo, s1
	v_mov_b32_dpp v6, v3 row_shr:4 row_mask:0xf bank_mask:0xf
	v_mov_b32_dpp v5, v2 row_shr:4 row_mask:0xf bank_mask:0xf
	s_mov_b32 s1, exec_lo
	v_cmpx_lt_u32_e32 3, v4
; %bb.358:
	s_delay_alu instid0(VALU_DEP_3) | instskip(SKIP_1) | instid1(VALU_DEP_2)
	v_add_co_u32 v3, vcc_lo, v0, v6
	v_add_co_ci_u32_e32 v0, vcc_lo, 0, v1, vcc_lo
	v_add_co_u32 v1, vcc_lo, 0, v3
	s_delay_alu instid0(VALU_DEP_2) | instskip(NEXT) | instid1(VALU_DEP_2)
	v_add_co_ci_u32_e32 v2, vcc_lo, v5, v0, vcc_lo
	v_mov_b32_e32 v0, v1
	s_delay_alu instid0(VALU_DEP_2)
	v_mov_b32_e32 v1, v2
; %bb.359:
	s_or_b32 exec_lo, exec_lo, s1
	v_mov_b32_dpp v6, v3 row_shr:8 row_mask:0xf bank_mask:0xf
	v_mov_b32_dpp v5, v2 row_shr:8 row_mask:0xf bank_mask:0xf
	s_mov_b32 s1, exec_lo
	v_cmpx_lt_u32_e32 7, v4
; %bb.360:
	s_delay_alu instid0(VALU_DEP_3) | instskip(SKIP_1) | instid1(VALU_DEP_2)
	v_add_co_u32 v3, vcc_lo, v0, v6
	v_add_co_ci_u32_e32 v1, vcc_lo, 0, v1, vcc_lo
	v_add_co_u32 v0, vcc_lo, 0, v3
	s_delay_alu instid0(VALU_DEP_2) | instskip(NEXT) | instid1(VALU_DEP_1)
	v_add_co_ci_u32_e32 v1, vcc_lo, v5, v1, vcc_lo
	v_mov_b32_e32 v2, v1
; %bb.361:
	s_or_b32 exec_lo, exec_lo, s1
	ds_swizzle_b32 v4, v3 offset:swizzle(BROADCAST,32,15)
	ds_swizzle_b32 v2, v2 offset:swizzle(BROADCAST,32,15)
	v_and_b32_e32 v5, 16, v39
	s_mov_b32 s1, exec_lo
	s_delay_alu instid0(VALU_DEP_1)
	v_cmpx_ne_u32_e32 0, v5
	s_cbranch_execz .LBB23_363
; %bb.362:
	s_waitcnt lgkmcnt(1)
	v_add_co_u32 v3, vcc_lo, v0, v4
	v_add_co_ci_u32_e32 v1, vcc_lo, 0, v1, vcc_lo
	s_delay_alu instid0(VALU_DEP_2) | instskip(SKIP_1) | instid1(VALU_DEP_2)
	v_add_co_u32 v0, vcc_lo, 0, v3
	s_waitcnt lgkmcnt(0)
	v_add_co_ci_u32_e32 v1, vcc_lo, v2, v1, vcc_lo
.LBB23_363:
	s_or_b32 exec_lo, exec_lo, s1
	s_waitcnt lgkmcnt(0)
	v_and_b32_e32 v2, 0x3e0, v16
	s_mov_b32 s1, exec_lo
	s_delay_alu instid0(VALU_DEP_1) | instskip(NEXT) | instid1(VALU_DEP_1)
	v_min_u32_e32 v2, 0xe0, v2
	v_or_b32_e32 v4, 31, v2
	v_lshrrev_b32_e32 v2, 5, v16
	s_delay_alu instid0(VALU_DEP_2)
	v_cmpx_eq_u32_e64 v4, v16
	s_cbranch_execz .LBB23_365
; %bb.364:
	s_delay_alu instid0(VALU_DEP_2)
	v_lshlrev_b32_e32 v4, 3, v2
	ds_store_b64 v4, v[0:1]
.LBB23_365:
	s_or_b32 exec_lo, exec_lo, s1
	s_delay_alu instid0(SALU_CYCLE_1)
	s_mov_b32 s1, exec_lo
	s_waitcnt lgkmcnt(0)
	s_barrier
	buffer_gl0_inv
	v_cmpx_gt_u32_e32 8, v16
	s_cbranch_execz .LBB23_373
; %bb.366:
	v_lshlrev_b32_e32 v4, 3, v16
	s_mov_b32 s2, exec_lo
	ds_load_b64 v[0:1], v4
	s_waitcnt lgkmcnt(0)
	v_dual_mov_b32 v6, v0 :: v_dual_and_b32 v5, 7, v39
	v_mov_b32_dpp v10, v0 row_shr:1 row_mask:0xf bank_mask:0xf
	v_mov_b32_dpp v7, v1 row_shr:1 row_mask:0xf bank_mask:0xf
	s_delay_alu instid0(VALU_DEP_3)
	v_cmpx_ne_u32_e32 0, v5
; %bb.367:
	s_delay_alu instid0(VALU_DEP_3) | instskip(SKIP_1) | instid1(VALU_DEP_2)
	v_add_co_u32 v6, vcc_lo, v0, v10
	v_add_co_ci_u32_e32 v1, vcc_lo, 0, v1, vcc_lo
	v_add_co_u32 v0, vcc_lo, 0, v6
	s_delay_alu instid0(VALU_DEP_2)
	v_add_co_ci_u32_e32 v1, vcc_lo, v7, v1, vcc_lo
; %bb.368:
	s_or_b32 exec_lo, exec_lo, s2
	v_mov_b32_dpp v10, v6 row_shr:2 row_mask:0xf bank_mask:0xf
	s_delay_alu instid0(VALU_DEP_2)
	v_mov_b32_dpp v7, v1 row_shr:2 row_mask:0xf bank_mask:0xf
	s_mov_b32 s2, exec_lo
	v_cmpx_lt_u32_e32 1, v5
; %bb.369:
	s_delay_alu instid0(VALU_DEP_3) | instskip(SKIP_1) | instid1(VALU_DEP_2)
	v_add_co_u32 v6, vcc_lo, v0, v10
	v_add_co_ci_u32_e32 v1, vcc_lo, 0, v1, vcc_lo
	v_add_co_u32 v0, vcc_lo, 0, v6
	s_delay_alu instid0(VALU_DEP_2)
	v_add_co_ci_u32_e32 v1, vcc_lo, v7, v1, vcc_lo
; %bb.370:
	s_or_b32 exec_lo, exec_lo, s2
	v_mov_b32_dpp v7, v6 row_shr:4 row_mask:0xf bank_mask:0xf
	s_delay_alu instid0(VALU_DEP_2)
	v_mov_b32_dpp v6, v1 row_shr:4 row_mask:0xf bank_mask:0xf
	s_mov_b32 s2, exec_lo
	v_cmpx_lt_u32_e32 3, v5
; %bb.371:
	s_delay_alu instid0(VALU_DEP_3) | instskip(SKIP_1) | instid1(VALU_DEP_2)
	v_add_co_u32 v0, vcc_lo, v0, v7
	v_add_co_ci_u32_e32 v1, vcc_lo, 0, v1, vcc_lo
	v_add_co_u32 v0, vcc_lo, v0, 0
	s_delay_alu instid0(VALU_DEP_2)
	v_add_co_ci_u32_e32 v1, vcc_lo, v1, v6, vcc_lo
; %bb.372:
	s_or_b32 exec_lo, exec_lo, s2
	ds_store_b64 v4, v[0:1]
.LBB23_373:
	s_or_b32 exec_lo, exec_lo, s1
	v_cmp_gt_u32_e32 vcc_lo, 32, v16
	s_mov_b32 s2, exec_lo
	s_waitcnt lgkmcnt(0)
	s_barrier
	buffer_gl0_inv
                                        ; implicit-def: $vgpr10_vgpr11
	v_cmpx_lt_u32_e32 31, v16
	s_cbranch_execz .LBB23_375
; %bb.374:
	v_lshl_add_u32 v0, v2, 3, -8
	ds_load_b64 v[10:11], v0
	s_waitcnt lgkmcnt(0)
	v_add_nc_u32_e32 v3, v3, v10
.LBB23_375:
	s_or_b32 exec_lo, exec_lo, s2
	v_add_nc_u32_e32 v0, -1, v39
	s_delay_alu instid0(VALU_DEP_1) | instskip(NEXT) | instid1(VALU_DEP_1)
	v_cmp_gt_i32_e64 s1, 0, v0
	v_cndmask_b32_e64 v0, v0, v39, s1
	v_cmp_eq_u32_e64 s1, 0, v39
	s_delay_alu instid0(VALU_DEP_2)
	v_lshlrev_b32_e32 v0, 2, v0
	ds_bpermute_b32 v40, v0, v3
	s_and_saveexec_b32 s2, vcc_lo
	s_cbranch_execz .LBB23_413
; %bb.376:
	v_mov_b32_e32 v3, 0
	ds_load_b64 v[0:1], v3 offset:56
	s_and_saveexec_b32 s3, s1
	s_cbranch_execz .LBB23_378
; %bb.377:
	s_add_i32 s4, s30, 32
	s_mov_b32 s5, 0
	s_delay_alu instid0(SALU_CYCLE_1) | instskip(NEXT) | instid1(SALU_CYCLE_1)
	s_lshl_b64 s[4:5], s[4:5], 4
	s_add_u32 s4, s28, s4
	s_addc_u32 s5, s29, s5
	v_mov_b32_e32 v4, s4
	v_dual_mov_b32 v2, 1 :: v_dual_mov_b32 v5, s5
	s_waitcnt lgkmcnt(0)
	;;#ASMSTART
	global_store_dwordx4 v[4:5], v[0:3] off	
s_waitcnt vmcnt(0)
	;;#ASMEND
.LBB23_378:
	s_or_b32 exec_lo, exec_lo, s3
	v_xad_u32 v11, v39, -1, s30
	s_mov_b32 s4, 0
	s_mov_b32 s3, exec_lo
	s_delay_alu instid0(VALU_DEP_1) | instskip(NEXT) | instid1(VALU_DEP_1)
	v_add_nc_u32_e32 v2, 32, v11
	v_lshlrev_b64 v[2:3], 4, v[2:3]
	s_delay_alu instid0(VALU_DEP_1) | instskip(NEXT) | instid1(VALU_DEP_2)
	v_add_co_u32 v2, vcc_lo, s28, v2
	v_add_co_ci_u32_e32 v3, vcc_lo, s29, v3, vcc_lo
	;;#ASMSTART
	global_load_dwordx4 v[4:7], v[2:3] off glc	
s_waitcnt vmcnt(0)
	;;#ASMEND
	v_and_b32_e32 v7, 0xff, v5
	v_and_b32_e32 v12, 0xff00, v5
	;; [unrolled: 1-line block ×3, first 2 shown]
	v_or3_b32 v4, v4, 0, 0
	v_and_b32_e32 v5, 0xff000000, v5
	s_delay_alu instid0(VALU_DEP_4) | instskip(SKIP_1) | instid1(VALU_DEP_4)
	v_or3_b32 v7, 0, v7, v12
	v_and_b32_e32 v12, 0xff, v6
	v_or3_b32 v4, v4, 0, 0
	s_delay_alu instid0(VALU_DEP_3) | instskip(NEXT) | instid1(VALU_DEP_3)
	v_or3_b32 v5, v7, v13, v5
	v_cmpx_eq_u16_e32 0, v12
	s_cbranch_execz .LBB23_381
.LBB23_379:                             ; =>This Inner Loop Header: Depth=1
	;;#ASMSTART
	global_load_dwordx4 v[4:7], v[2:3] off glc	
s_waitcnt vmcnt(0)
	;;#ASMEND
	v_and_b32_e32 v7, 0xff, v6
	s_delay_alu instid0(VALU_DEP_1) | instskip(SKIP_1) | instid1(SALU_CYCLE_1)
	v_cmp_ne_u16_e32 vcc_lo, 0, v7
	s_or_b32 s4, vcc_lo, s4
	s_and_not1_b32 exec_lo, exec_lo, s4
	s_cbranch_execnz .LBB23_379
; %bb.380:
	s_or_b32 exec_lo, exec_lo, s4
.LBB23_381:
	s_delay_alu instid0(SALU_CYCLE_1)
	s_or_b32 exec_lo, exec_lo, s3
	v_cmp_ne_u32_e32 vcc_lo, 31, v39
	v_and_b32_e32 v3, 0xff, v6
	v_lshlrev_b32_e64 v42, v39, -1
	s_mov_b32 s3, exec_lo
	v_add_co_ci_u32_e32 v2, vcc_lo, 0, v39, vcc_lo
	s_delay_alu instid0(VALU_DEP_3) | instskip(SKIP_1) | instid1(VALU_DEP_3)
	v_cmp_eq_u16_e32 vcc_lo, 2, v3
	v_mov_b32_e32 v3, v4
	v_lshlrev_b32_e32 v41, 2, v2
	v_and_or_b32 v2, vcc_lo, v42, 0x80000000
	ds_bpermute_b32 v12, v41, v4
	ds_bpermute_b32 v7, v41, v5
	v_ctz_i32_b32_e32 v2, v2
	s_delay_alu instid0(VALU_DEP_1)
	v_cmpx_lt_u32_e64 v39, v2
	s_cbranch_execz .LBB23_383
; %bb.382:
	s_waitcnt lgkmcnt(1)
	v_add_co_u32 v3, vcc_lo, v4, v12
	v_add_co_ci_u32_e32 v5, vcc_lo, 0, v5, vcc_lo
	s_delay_alu instid0(VALU_DEP_2) | instskip(SKIP_1) | instid1(VALU_DEP_2)
	v_add_co_u32 v4, vcc_lo, 0, v3
	s_waitcnt lgkmcnt(0)
	v_add_co_ci_u32_e32 v5, vcc_lo, v7, v5, vcc_lo
.LBB23_383:
	s_or_b32 exec_lo, exec_lo, s3
	v_cmp_gt_u32_e32 vcc_lo, 30, v39
	v_add_nc_u32_e32 v44, 2, v39
	s_mov_b32 s3, exec_lo
	s_waitcnt lgkmcnt(0)
	v_cndmask_b32_e64 v7, 0, 1, vcc_lo
	s_delay_alu instid0(VALU_DEP_1) | instskip(NEXT) | instid1(VALU_DEP_1)
	v_lshlrev_b32_e32 v7, 1, v7
	v_add_lshl_u32 v43, v7, v39, 2
	ds_bpermute_b32 v12, v43, v3
	ds_bpermute_b32 v7, v43, v5
	v_cmpx_le_u32_e64 v44, v2
	s_cbranch_execz .LBB23_385
; %bb.384:
	s_waitcnt lgkmcnt(1)
	v_add_co_u32 v3, vcc_lo, v4, v12
	v_add_co_ci_u32_e32 v5, vcc_lo, 0, v5, vcc_lo
	s_delay_alu instid0(VALU_DEP_2) | instskip(SKIP_1) | instid1(VALU_DEP_2)
	v_add_co_u32 v4, vcc_lo, 0, v3
	s_waitcnt lgkmcnt(0)
	v_add_co_ci_u32_e32 v5, vcc_lo, v7, v5, vcc_lo
.LBB23_385:
	s_or_b32 exec_lo, exec_lo, s3
	v_cmp_gt_u32_e32 vcc_lo, 28, v39
	v_add_nc_u32_e32 v46, 4, v39
	s_mov_b32 s3, exec_lo
	s_waitcnt lgkmcnt(0)
	v_cndmask_b32_e64 v7, 0, 1, vcc_lo
	s_delay_alu instid0(VALU_DEP_1) | instskip(NEXT) | instid1(VALU_DEP_1)
	v_lshlrev_b32_e32 v7, 2, v7
	v_add_lshl_u32 v45, v7, v39, 2
	ds_bpermute_b32 v12, v45, v3
	ds_bpermute_b32 v7, v45, v5
	v_cmpx_le_u32_e64 v46, v2
	;; [unrolled: 22-line block ×4, first 2 shown]
	s_cbranch_execz .LBB23_391
; %bb.390:
	s_waitcnt lgkmcnt(1)
	v_add_co_u32 v2, vcc_lo, v4, v7
	v_add_co_ci_u32_e32 v5, vcc_lo, 0, v5, vcc_lo
	s_delay_alu instid0(VALU_DEP_2) | instskip(SKIP_1) | instid1(VALU_DEP_2)
	v_add_co_u32 v4, vcc_lo, v2, 0
	s_waitcnt lgkmcnt(0)
	v_add_co_ci_u32_e32 v5, vcc_lo, v5, v3, vcc_lo
.LBB23_391:
	s_or_b32 exec_lo, exec_lo, s3
	v_mov_b32_e32 v12, 0
	s_branch .LBB23_393
.LBB23_392:                             ;   in Loop: Header=BB23_393 Depth=1
	s_or_b32 exec_lo, exec_lo, s3
	v_add_co_u32 v4, vcc_lo, v4, v2
	v_subrev_nc_u32_e32 v11, 32, v11
	v_add_co_ci_u32_e32 v5, vcc_lo, v5, v3, vcc_lo
.LBB23_393:                             ; =>This Loop Header: Depth=1
                                        ;     Child Loop BB23_396 Depth 2
	v_and_b32_e32 v2, 0xff, v6
	s_delay_alu instid0(VALU_DEP_1) | instskip(SKIP_2) | instid1(VALU_DEP_1)
	v_cmp_ne_u16_e32 vcc_lo, 2, v2
	v_cndmask_b32_e64 v2, 0, 1, vcc_lo
	;;#ASMSTART
	;;#ASMEND
	v_cmp_ne_u32_e32 vcc_lo, 0, v2
	s_waitcnt lgkmcnt(0)
	v_dual_mov_b32 v2, v4 :: v_dual_mov_b32 v3, v5
	s_cmp_lg_u32 vcc_lo, exec_lo
	s_cbranch_scc1 .LBB23_408
; %bb.394:                              ;   in Loop: Header=BB23_393 Depth=1
	v_lshlrev_b64 v[4:5], 4, v[11:12]
	s_mov_b32 s3, exec_lo
	s_delay_alu instid0(VALU_DEP_1) | instskip(NEXT) | instid1(VALU_DEP_2)
	v_add_co_u32 v13, vcc_lo, s28, v4
	v_add_co_ci_u32_e32 v14, vcc_lo, s29, v5, vcc_lo
	;;#ASMSTART
	global_load_dwordx4 v[4:7], v[13:14] off glc	
s_waitcnt vmcnt(0)
	;;#ASMEND
	v_and_b32_e32 v7, 0xff, v5
	v_and_b32_e32 v51, 0xff00, v5
	;; [unrolled: 1-line block ×3, first 2 shown]
	v_or3_b32 v4, v4, 0, 0
	v_and_b32_e32 v5, 0xff000000, v5
	s_delay_alu instid0(VALU_DEP_4) | instskip(SKIP_1) | instid1(VALU_DEP_4)
	v_or3_b32 v7, 0, v7, v51
	v_and_b32_e32 v51, 0xff, v6
	v_or3_b32 v4, v4, 0, 0
	s_delay_alu instid0(VALU_DEP_3) | instskip(NEXT) | instid1(VALU_DEP_3)
	v_or3_b32 v5, v7, v52, v5
	v_cmpx_eq_u16_e32 0, v51
	s_cbranch_execz .LBB23_398
; %bb.395:                              ;   in Loop: Header=BB23_393 Depth=1
	s_mov_b32 s4, 0
.LBB23_396:                             ;   Parent Loop BB23_393 Depth=1
                                        ; =>  This Inner Loop Header: Depth=2
	;;#ASMSTART
	global_load_dwordx4 v[4:7], v[13:14] off glc	
s_waitcnt vmcnt(0)
	;;#ASMEND
	v_and_b32_e32 v7, 0xff, v6
	s_delay_alu instid0(VALU_DEP_1) | instskip(SKIP_1) | instid1(SALU_CYCLE_1)
	v_cmp_ne_u16_e32 vcc_lo, 0, v7
	s_or_b32 s4, vcc_lo, s4
	s_and_not1_b32 exec_lo, exec_lo, s4
	s_cbranch_execnz .LBB23_396
; %bb.397:                              ;   in Loop: Header=BB23_393 Depth=1
	s_or_b32 exec_lo, exec_lo, s4
.LBB23_398:                             ;   in Loop: Header=BB23_393 Depth=1
	s_delay_alu instid0(SALU_CYCLE_1)
	s_or_b32 exec_lo, exec_lo, s3
	v_and_b32_e32 v7, 0xff, v6
	ds_bpermute_b32 v51, v41, v4
	ds_bpermute_b32 v14, v41, v5
	v_mov_b32_e32 v13, v4
	s_mov_b32 s3, exec_lo
	v_cmp_eq_u16_e32 vcc_lo, 2, v7
	v_and_or_b32 v7, vcc_lo, v42, 0x80000000
	s_delay_alu instid0(VALU_DEP_1) | instskip(NEXT) | instid1(VALU_DEP_1)
	v_ctz_i32_b32_e32 v7, v7
	v_cmpx_lt_u32_e64 v39, v7
	s_cbranch_execz .LBB23_400
; %bb.399:                              ;   in Loop: Header=BB23_393 Depth=1
	s_waitcnt lgkmcnt(1)
	v_add_co_u32 v13, vcc_lo, v4, v51
	v_add_co_ci_u32_e32 v5, vcc_lo, 0, v5, vcc_lo
	s_delay_alu instid0(VALU_DEP_2) | instskip(SKIP_1) | instid1(VALU_DEP_2)
	v_add_co_u32 v4, vcc_lo, 0, v13
	s_waitcnt lgkmcnt(0)
	v_add_co_ci_u32_e32 v5, vcc_lo, v14, v5, vcc_lo
.LBB23_400:                             ;   in Loop: Header=BB23_393 Depth=1
	s_or_b32 exec_lo, exec_lo, s3
	s_waitcnt lgkmcnt(1)
	ds_bpermute_b32 v51, v43, v13
	s_waitcnt lgkmcnt(1)
	ds_bpermute_b32 v14, v43, v5
	s_mov_b32 s3, exec_lo
	v_cmpx_le_u32_e64 v44, v7
	s_cbranch_execz .LBB23_402
; %bb.401:                              ;   in Loop: Header=BB23_393 Depth=1
	s_waitcnt lgkmcnt(1)
	v_add_co_u32 v13, vcc_lo, v4, v51
	v_add_co_ci_u32_e32 v5, vcc_lo, 0, v5, vcc_lo
	s_delay_alu instid0(VALU_DEP_2) | instskip(SKIP_1) | instid1(VALU_DEP_2)
	v_add_co_u32 v4, vcc_lo, 0, v13
	s_waitcnt lgkmcnt(0)
	v_add_co_ci_u32_e32 v5, vcc_lo, v14, v5, vcc_lo
.LBB23_402:                             ;   in Loop: Header=BB23_393 Depth=1
	s_or_b32 exec_lo, exec_lo, s3
	s_waitcnt lgkmcnt(1)
	ds_bpermute_b32 v51, v45, v13
	s_waitcnt lgkmcnt(1)
	ds_bpermute_b32 v14, v45, v5
	s_mov_b32 s3, exec_lo
	v_cmpx_le_u32_e64 v46, v7
	;; [unrolled: 17-line block ×3, first 2 shown]
	s_cbranch_execz .LBB23_406
; %bb.405:                              ;   in Loop: Header=BB23_393 Depth=1
	s_waitcnt lgkmcnt(1)
	v_add_co_u32 v13, vcc_lo, v4, v51
	v_add_co_ci_u32_e32 v5, vcc_lo, 0, v5, vcc_lo
	s_delay_alu instid0(VALU_DEP_2) | instskip(SKIP_1) | instid1(VALU_DEP_2)
	v_add_co_u32 v4, vcc_lo, 0, v13
	s_waitcnt lgkmcnt(0)
	v_add_co_ci_u32_e32 v5, vcc_lo, v14, v5, vcc_lo
.LBB23_406:                             ;   in Loop: Header=BB23_393 Depth=1
	s_or_b32 exec_lo, exec_lo, s3
	s_waitcnt lgkmcnt(0)
	ds_bpermute_b32 v14, v49, v13
	ds_bpermute_b32 v13, v49, v5
	s_mov_b32 s3, exec_lo
	v_cmpx_le_u32_e64 v50, v7
	s_cbranch_execz .LBB23_392
; %bb.407:                              ;   in Loop: Header=BB23_393 Depth=1
	s_waitcnt lgkmcnt(1)
	v_add_co_u32 v4, vcc_lo, v4, v14
	v_add_co_ci_u32_e32 v5, vcc_lo, 0, v5, vcc_lo
	s_delay_alu instid0(VALU_DEP_2) | instskip(SKIP_1) | instid1(VALU_DEP_2)
	v_add_co_u32 v4, vcc_lo, v4, 0
	s_waitcnt lgkmcnt(0)
	v_add_co_ci_u32_e32 v5, vcc_lo, v5, v13, vcc_lo
	s_branch .LBB23_392
.LBB23_408:                             ;   in Loop: Header=BB23_393 Depth=1
                                        ; implicit-def: $vgpr4_vgpr5
	s_cbranch_execz .LBB23_393
; %bb.409:
	s_and_saveexec_b32 s3, s1
	s_cbranch_execz .LBB23_411
; %bb.410:
	s_add_i32 s4, s30, 32
	s_mov_b32 s5, 0
	v_add_co_u32 v4, vcc_lo, v2, v0
	s_lshl_b64 s[4:5], s[4:5], 4
	v_dual_mov_b32 v6, 2 :: v_dual_mov_b32 v7, 0
	s_add_u32 s4, s28, s4
	s_addc_u32 s5, s29, s5
	v_add_co_ci_u32_e32 v5, vcc_lo, v3, v1, vcc_lo
	v_dual_mov_b32 v12, s5 :: v_dual_mov_b32 v11, s4
	;;#ASMSTART
	global_store_dwordx4 v[11:12], v[4:7] off	
s_waitcnt vmcnt(0)
	;;#ASMEND
	ds_store_b128 v7, v[0:3] offset:64
.LBB23_411:
	s_or_b32 exec_lo, exec_lo, s3
	s_delay_alu instid0(SALU_CYCLE_1)
	s_and_b32 exec_lo, exec_lo, s0
	s_cbranch_execz .LBB23_413
; %bb.412:
	v_mov_b32_e32 v0, 0
	ds_store_b64 v0, v[2:3] offset:56
.LBB23_413:
	s_or_b32 exec_lo, exec_lo, s2
	v_mov_b32_e32 v0, 0
	s_waitcnt lgkmcnt(0)
	s_barrier
	buffer_gl0_inv
	ds_load_b64 v[4:5], v0 offset:56
	s_waitcnt lgkmcnt(0)
	s_barrier
	buffer_gl0_inv
	ds_load_b128 v[0:3], v0 offset:64
	s_waitcnt lgkmcnt(0)
	v_cndmask_b32_e64 v1, v40, v10, s1
	s_delay_alu instid0(VALU_DEP_1) | instskip(NEXT) | instid1(VALU_DEP_1)
	v_cndmask_b32_e64 v1, v1, 0, s0
	v_add_co_u32 v4, vcc_lo, v4, v1
	s_branch .LBB23_440
.LBB23_414:
                                        ; implicit-def: $vgpr2_vgpr3
                                        ; implicit-def: $vgpr4_vgpr5
	s_and_b32 vcc_lo, exec_lo, s1
	s_cbranch_vccz .LBB23_440
; %bb.415:
	v_dual_mov_b32 v2, 0 :: v_dual_and_b32 v3, 15, v39
	v_mov_b32_dpp v5, v8 row_shr:1 row_mask:0xf bank_mask:0xf
	v_dual_mov_b32 v0, v8 :: v_dual_mov_b32 v1, v9
	s_delay_alu instid0(VALU_DEP_3)
	v_mov_b32_dpp v4, v2 row_shr:1 row_mask:0xf bank_mask:0xf
	s_mov_b32 s1, exec_lo
	v_cmpx_ne_u32_e32 0, v3
; %bb.416:
	v_add_co_u32 v8, s2, v5, v8
	s_delay_alu instid0(VALU_DEP_1) | instskip(NEXT) | instid1(VALU_DEP_2)
	v_add_co_ci_u32_e64 v0, null, 0, 0, s2
	v_add_co_u32 v1, vcc_lo, 0, v8
	s_delay_alu instid0(VALU_DEP_2) | instskip(NEXT) | instid1(VALU_DEP_2)
	v_add_co_ci_u32_e32 v2, vcc_lo, v4, v0, vcc_lo
	v_mov_b32_e32 v0, v1
	s_delay_alu instid0(VALU_DEP_2)
	v_mov_b32_e32 v1, v2
; %bb.417:
	s_or_b32 exec_lo, exec_lo, s1
	v_mov_b32_dpp v5, v8 row_shr:2 row_mask:0xf bank_mask:0xf
	v_mov_b32_dpp v4, v2 row_shr:2 row_mask:0xf bank_mask:0xf
	s_mov_b32 s1, exec_lo
	v_cmpx_lt_u32_e32 1, v3
; %bb.418:
	s_delay_alu instid0(VALU_DEP_3) | instskip(SKIP_1) | instid1(VALU_DEP_2)
	v_add_co_u32 v8, vcc_lo, v0, v5
	v_add_co_ci_u32_e32 v0, vcc_lo, 0, v1, vcc_lo
	v_add_co_u32 v1, vcc_lo, 0, v8
	s_delay_alu instid0(VALU_DEP_2) | instskip(NEXT) | instid1(VALU_DEP_2)
	v_add_co_ci_u32_e32 v2, vcc_lo, v4, v0, vcc_lo
	v_mov_b32_e32 v0, v1
	s_delay_alu instid0(VALU_DEP_2)
	v_mov_b32_e32 v1, v2
; %bb.419:
	s_or_b32 exec_lo, exec_lo, s1
	v_mov_b32_dpp v5, v8 row_shr:4 row_mask:0xf bank_mask:0xf
	v_mov_b32_dpp v4, v2 row_shr:4 row_mask:0xf bank_mask:0xf
	s_mov_b32 s1, exec_lo
	v_cmpx_lt_u32_e32 3, v3
; %bb.420:
	s_delay_alu instid0(VALU_DEP_3) | instskip(SKIP_1) | instid1(VALU_DEP_2)
	v_add_co_u32 v8, vcc_lo, v0, v5
	v_add_co_ci_u32_e32 v0, vcc_lo, 0, v1, vcc_lo
	;; [unrolled: 16-line block ×3, first 2 shown]
	v_add_co_u32 v0, vcc_lo, 0, v8
	s_delay_alu instid0(VALU_DEP_2) | instskip(NEXT) | instid1(VALU_DEP_1)
	v_add_co_ci_u32_e32 v1, vcc_lo, v4, v1, vcc_lo
	v_mov_b32_e32 v2, v1
; %bb.423:
	s_or_b32 exec_lo, exec_lo, s1
	ds_swizzle_b32 v3, v8 offset:swizzle(BROADCAST,32,15)
	ds_swizzle_b32 v2, v2 offset:swizzle(BROADCAST,32,15)
	v_and_b32_e32 v4, 16, v39
	s_mov_b32 s1, exec_lo
	s_delay_alu instid0(VALU_DEP_1)
	v_cmpx_ne_u32_e32 0, v4
	s_cbranch_execz .LBB23_425
; %bb.424:
	s_waitcnt lgkmcnt(1)
	v_add_co_u32 v8, vcc_lo, v0, v3
	v_add_co_ci_u32_e32 v1, vcc_lo, 0, v1, vcc_lo
	s_delay_alu instid0(VALU_DEP_2) | instskip(SKIP_1) | instid1(VALU_DEP_2)
	v_add_co_u32 v0, vcc_lo, 0, v8
	s_waitcnt lgkmcnt(0)
	v_add_co_ci_u32_e32 v1, vcc_lo, v2, v1, vcc_lo
.LBB23_425:
	s_or_b32 exec_lo, exec_lo, s1
	s_waitcnt lgkmcnt(0)
	v_and_b32_e32 v2, 0x3e0, v16
	v_lshrrev_b32_e32 v4, 5, v16
	s_mov_b32 s1, exec_lo
	s_delay_alu instid0(VALU_DEP_2) | instskip(NEXT) | instid1(VALU_DEP_1)
	v_min_u32_e32 v2, 0xe0, v2
	v_or_b32_e32 v2, 31, v2
	s_delay_alu instid0(VALU_DEP_1)
	v_cmpx_eq_u32_e64 v2, v16
	s_cbranch_execz .LBB23_427
; %bb.426:
	v_lshlrev_b32_e32 v2, 3, v4
	ds_store_b64 v2, v[0:1]
.LBB23_427:
	s_or_b32 exec_lo, exec_lo, s1
	s_delay_alu instid0(SALU_CYCLE_1)
	s_mov_b32 s1, exec_lo
	s_waitcnt lgkmcnt(0)
	s_barrier
	buffer_gl0_inv
	v_cmpx_gt_u32_e32 8, v16
	s_cbranch_execz .LBB23_435
; %bb.428:
	v_add_nc_u32_e32 v2, v15, v15
	v_and_b32_e32 v3, 7, v39
	s_mov_b32 s2, exec_lo
	ds_load_b64 v[0:1], v2
	s_waitcnt lgkmcnt(0)
	v_mov_b32_e32 v5, v0
	v_mov_b32_dpp v7, v0 row_shr:1 row_mask:0xf bank_mask:0xf
	v_mov_b32_dpp v6, v1 row_shr:1 row_mask:0xf bank_mask:0xf
	v_cmpx_ne_u32_e32 0, v3
; %bb.429:
	s_delay_alu instid0(VALU_DEP_3) | instskip(SKIP_1) | instid1(VALU_DEP_2)
	v_add_co_u32 v5, vcc_lo, v0, v7
	v_add_co_ci_u32_e32 v1, vcc_lo, 0, v1, vcc_lo
	v_add_co_u32 v0, vcc_lo, 0, v5
	s_delay_alu instid0(VALU_DEP_2)
	v_add_co_ci_u32_e32 v1, vcc_lo, v6, v1, vcc_lo
; %bb.430:
	s_or_b32 exec_lo, exec_lo, s2
	v_mov_b32_dpp v7, v5 row_shr:2 row_mask:0xf bank_mask:0xf
	s_delay_alu instid0(VALU_DEP_2)
	v_mov_b32_dpp v6, v1 row_shr:2 row_mask:0xf bank_mask:0xf
	s_mov_b32 s2, exec_lo
	v_cmpx_lt_u32_e32 1, v3
; %bb.431:
	s_delay_alu instid0(VALU_DEP_3) | instskip(SKIP_1) | instid1(VALU_DEP_2)
	v_add_co_u32 v5, vcc_lo, v0, v7
	v_add_co_ci_u32_e32 v1, vcc_lo, 0, v1, vcc_lo
	v_add_co_u32 v0, vcc_lo, 0, v5
	s_delay_alu instid0(VALU_DEP_2)
	v_add_co_ci_u32_e32 v1, vcc_lo, v6, v1, vcc_lo
; %bb.432:
	s_or_b32 exec_lo, exec_lo, s2
	v_mov_b32_dpp v6, v5 row_shr:4 row_mask:0xf bank_mask:0xf
	s_delay_alu instid0(VALU_DEP_2)
	v_mov_b32_dpp v5, v1 row_shr:4 row_mask:0xf bank_mask:0xf
	s_mov_b32 s2, exec_lo
	v_cmpx_lt_u32_e32 3, v3
; %bb.433:
	s_delay_alu instid0(VALU_DEP_3) | instskip(SKIP_1) | instid1(VALU_DEP_2)
	v_add_co_u32 v0, vcc_lo, v0, v6
	v_add_co_ci_u32_e32 v1, vcc_lo, 0, v1, vcc_lo
	v_add_co_u32 v0, vcc_lo, v0, 0
	s_delay_alu instid0(VALU_DEP_2)
	v_add_co_ci_u32_e32 v1, vcc_lo, v1, v5, vcc_lo
; %bb.434:
	s_or_b32 exec_lo, exec_lo, s2
	ds_store_b64 v2, v[0:1]
.LBB23_435:
	s_or_b32 exec_lo, exec_lo, s1
	s_delay_alu instid0(SALU_CYCLE_1)
	s_mov_b32 s1, exec_lo
	v_mov_b32_e32 v2, 0
	v_mov_b32_e32 v3, 0
	s_waitcnt lgkmcnt(0)
	s_barrier
	buffer_gl0_inv
	v_cmpx_lt_u32_e32 31, v16
	s_cbranch_execz .LBB23_437
; %bb.436:
	v_lshl_add_u32 v0, v4, 3, -8
	ds_load_b64 v[2:3], v0
.LBB23_437:
	s_or_b32 exec_lo, exec_lo, s1
	s_waitcnt lgkmcnt(0)
	v_dual_mov_b32 v3, 0 :: v_dual_add_nc_u32 v0, -1, v39
	v_add_nc_u32_e32 v1, v8, v2
	s_delay_alu instid0(VALU_DEP_2) | instskip(SKIP_2) | instid1(VALU_DEP_2)
	v_cmp_gt_i32_e32 vcc_lo, 0, v0
	v_cndmask_b32_e32 v0, v0, v39, vcc_lo
	v_cmp_eq_u32_e32 vcc_lo, 0, v39
	v_lshlrev_b32_e32 v0, 2, v0
	ds_bpermute_b32 v4, v0, v1
	ds_load_b64 v[0:1], v3 offset:56
	s_waitcnt lgkmcnt(1)
	v_cndmask_b32_e32 v4, v4, v2, vcc_lo
	s_and_saveexec_b32 s1, s0
	s_cbranch_execz .LBB23_439
; %bb.438:
	s_add_u32 s2, s28, 0x200
	s_addc_u32 s3, s29, 0
	v_mov_b32_e32 v2, 2
	v_dual_mov_b32 v6, s3 :: v_dual_mov_b32 v5, s2
	s_waitcnt lgkmcnt(0)
	;;#ASMSTART
	global_store_dwordx4 v[5:6], v[0:3] off	
s_waitcnt vmcnt(0)
	;;#ASMEND
.LBB23_439:
	s_or_b32 exec_lo, exec_lo, s1
	v_mov_b32_e32 v2, 0
	v_mov_b32_e32 v3, 0
.LBB23_440:
	s_waitcnt lgkmcnt(0)
	s_delay_alu instid0(VALU_DEP_1)
	v_sub_nc_u32_e32 v1, v4, v2
	s_xor_b32 s0, s12, -1
	s_xor_b32 s1, s13, -1
	;; [unrolled: 1-line block ×5, first 2 shown]
	s_barrier
	buffer_gl0_inv
	s_and_saveexec_b32 s5, s15
	s_cbranch_execnz .LBB23_471
; %bb.441:
	s_or_b32 exec_lo, exec_lo, s5
	s_and_saveexec_b32 s5, s4
	s_cbranch_execnz .LBB23_472
.LBB23_442:
	s_or_b32 exec_lo, exec_lo, s5
	s_and_saveexec_b32 s4, s3
	s_cbranch_execnz .LBB23_473
.LBB23_443:
	s_or_b32 exec_lo, exec_lo, s4
	s_and_saveexec_b32 s3, s2
	s_cbranch_execnz .LBB23_474
.LBB23_444:
	s_or_b32 exec_lo, exec_lo, s3
	s_and_saveexec_b32 s2, s1
	s_cbranch_execnz .LBB23_475
.LBB23_445:
	s_or_b32 exec_lo, exec_lo, s2
	s_and_saveexec_b32 s1, s0
	s_cbranch_execz .LBB23_447
.LBB23_446:
	v_lshlrev_b32_e32 v4, 2, v1
	v_add_nc_u32_e32 v1, 1, v1
	ds_store_b32 v4, v22 offset:1024
.LBB23_447:
	s_or_b32 exec_lo, exec_lo, s1
	v_and_b32_e32 v4, 64, v38
	s_mov_b32 s0, exec_lo
	s_delay_alu instid0(VALU_DEP_1)
	v_cmpx_ne_u32_e32 0, v4
	s_cbranch_execz .LBB23_449
; %bb.448:
	v_lshlrev_b32_e32 v4, 2, v1
	v_add_nc_u32_e32 v1, 1, v1
	ds_store_b32 v4, v23 offset:1024
.LBB23_449:
	s_or_b32 exec_lo, exec_lo, s0
	v_and_b32_e32 v4, 0x80, v37
	s_mov_b32 s0, exec_lo
	s_delay_alu instid0(VALU_DEP_1)
	v_cmpx_ne_u32_e32 0, v4
	s_cbranch_execz .LBB23_451
; %bb.450:
	v_lshlrev_b32_e32 v4, 2, v1
	v_add_nc_u32_e32 v1, 1, v1
	ds_store_b32 v4, v24 offset:1024
.LBB23_451:
	;; [unrolled: 11-line block ×9, first 2 shown]
	s_or_b32 exec_lo, exec_lo, s0
	v_and_b32_e32 v4, 0x8000, v33
	s_mov_b32 s0, exec_lo
	s_delay_alu instid0(VALU_DEP_1)
	v_cmpx_ne_u32_e32 0, v4
	s_cbranch_execz .LBB23_467
; %bb.466:
	v_lshlrev_b32_e32 v1, 2, v1
	ds_store_b32 v1, v32 offset:1024
.LBB23_467:
	s_or_b32 exec_lo, exec_lo, s0
	s_waitcnt lgkmcnt(0)
	s_barrier
	buffer_gl0_inv
	s_mov_b32 s0, exec_lo
	v_cmpx_lt_i32_e64 v16, v0
	s_cbranch_execz .LBB23_470
; %bb.468:
	v_lshlrev_b64 v[1:2], 2, v[2:3]
	v_lshlrev_b32_e32 v4, 2, v16
	v_lshl_add_u32 v3, v16, 2, 0x400
	s_mov_b32 s1, 0
	s_delay_alu instid0(VALU_DEP_3) | instskip(NEXT) | instid1(VALU_DEP_4)
	v_add_co_u32 v1, vcc_lo, s24, v1
	v_add_co_ci_u32_e32 v2, vcc_lo, s25, v2, vcc_lo
	s_delay_alu instid0(VALU_DEP_2) | instskip(NEXT) | instid1(VALU_DEP_2)
	v_add_co_u32 v1, vcc_lo, v1, v4
	v_add_co_ci_u32_e32 v2, vcc_lo, 0, v2, vcc_lo
	.p2align	6
.LBB23_469:                             ; =>This Inner Loop Header: Depth=1
	ds_load_b32 v4, v3
	v_add_nc_u32_e32 v16, 0x100, v16
	v_add_nc_u32_e32 v3, 0x400, v3
	s_delay_alu instid0(VALU_DEP_2) | instskip(SKIP_4) | instid1(VALU_DEP_1)
	v_cmp_ge_i32_e32 vcc_lo, v16, v0
	s_or_b32 s1, vcc_lo, s1
	s_waitcnt lgkmcnt(0)
	global_store_b32 v[1:2], v4, off
	v_add_co_u32 v1, s0, 0x400, v1
	v_add_co_ci_u32_e64 v2, s0, 0, v2, s0
	s_and_not1_b32 exec_lo, exec_lo, s1
	s_cbranch_execnz .LBB23_469
.LBB23_470:
	s_nop 0
	s_sendmsg sendmsg(MSG_DEALLOC_VGPRS)
	s_endpgm
.LBB23_471:
	v_add_nc_u32_e32 v4, 1, v1
	v_lshlrev_b32_e32 v5, 2, v1
	s_delay_alu instid0(VALU_DEP_2)
	v_mov_b32_e32 v1, v4
	ds_store_b32 v5, v18 offset:1024
	s_or_b32 exec_lo, exec_lo, s5
	s_and_saveexec_b32 s5, s4
	s_cbranch_execz .LBB23_442
.LBB23_472:
	v_lshlrev_b32_e32 v4, 2, v1
	v_add_nc_u32_e32 v1, 1, v1
	ds_store_b32 v4, v17 offset:1024
	s_or_b32 exec_lo, exec_lo, s5
	s_and_saveexec_b32 s4, s3
	s_cbranch_execz .LBB23_443
.LBB23_473:
	v_lshlrev_b32_e32 v4, 2, v1
	v_add_nc_u32_e32 v1, 1, v1
	ds_store_b32 v4, v19 offset:1024
	s_or_b32 exec_lo, exec_lo, s4
	s_and_saveexec_b32 s3, s2
	s_cbranch_execz .LBB23_444
.LBB23_474:
	v_lshlrev_b32_e32 v4, 2, v1
	v_add_nc_u32_e32 v1, 1, v1
	ds_store_b32 v4, v20 offset:1024
	s_or_b32 exec_lo, exec_lo, s3
	s_and_saveexec_b32 s2, s1
	s_cbranch_execz .LBB23_445
.LBB23_475:
	v_lshlrev_b32_e32 v4, 2, v1
	v_add_nc_u32_e32 v1, 1, v1
	ds_store_b32 v4, v21 offset:1024
	s_or_b32 exec_lo, exec_lo, s2
	s_and_saveexec_b32 s1, s0
	s_cbranch_execnz .LBB23_446
	s_branch .LBB23_447
	.section	.rodata,"a",@progbits
	.p2align	6, 0x0
	.amdhsa_kernel _ZN6thrust23THRUST_200600_302600_NS11hip_rocprim16__set_operations22lookback_set_op_kernelIN7rocprim17ROCPRIM_400000_NS13kernel_configILj256ELj16ELj4294967295EEELb0ENS0_6detail15normal_iteratorINS0_10device_ptrIKiEEEESD_PiSE_lNS9_INSA_IiEEEESE_NS0_4lessIiEENS2_23serial_set_intersectionENS5_6detail19lookback_scan_stateIlLb0ELb1EEEEEvT1_T2_T3_T4_T6_T7_T8_T9_PNS0_4pairIT5_SW_EEPSW_T10_NSK_16ordered_block_idIjEE
		.amdhsa_group_segment_fixed_size 36868
		.amdhsa_private_segment_fixed_size 0
		.amdhsa_kernarg_size 344
		.amdhsa_user_sgpr_count 15
		.amdhsa_user_sgpr_dispatch_ptr 0
		.amdhsa_user_sgpr_queue_ptr 0
		.amdhsa_user_sgpr_kernarg_segment_ptr 1
		.amdhsa_user_sgpr_dispatch_id 0
		.amdhsa_user_sgpr_private_segment_size 0
		.amdhsa_wavefront_size32 1
		.amdhsa_uses_dynamic_stack 0
		.amdhsa_enable_private_segment 0
		.amdhsa_system_sgpr_workgroup_id_x 1
		.amdhsa_system_sgpr_workgroup_id_y 0
		.amdhsa_system_sgpr_workgroup_id_z 0
		.amdhsa_system_sgpr_workgroup_info 0
		.amdhsa_system_vgpr_workitem_id 2
		.amdhsa_next_free_vgpr 74
		.amdhsa_next_free_sgpr 44
		.amdhsa_reserve_vcc 1
		.amdhsa_float_round_mode_32 0
		.amdhsa_float_round_mode_16_64 0
		.amdhsa_float_denorm_mode_32 3
		.amdhsa_float_denorm_mode_16_64 3
		.amdhsa_dx10_clamp 1
		.amdhsa_ieee_mode 1
		.amdhsa_fp16_overflow 0
		.amdhsa_workgroup_processor_mode 1
		.amdhsa_memory_ordered 1
		.amdhsa_forward_progress 0
		.amdhsa_shared_vgpr_count 0
		.amdhsa_exception_fp_ieee_invalid_op 0
		.amdhsa_exception_fp_denorm_src 0
		.amdhsa_exception_fp_ieee_div_zero 0
		.amdhsa_exception_fp_ieee_overflow 0
		.amdhsa_exception_fp_ieee_underflow 0
		.amdhsa_exception_fp_ieee_inexact 0
		.amdhsa_exception_int_div_zero 0
	.end_amdhsa_kernel
	.section	.text._ZN6thrust23THRUST_200600_302600_NS11hip_rocprim16__set_operations22lookback_set_op_kernelIN7rocprim17ROCPRIM_400000_NS13kernel_configILj256ELj16ELj4294967295EEELb0ENS0_6detail15normal_iteratorINS0_10device_ptrIKiEEEESD_PiSE_lNS9_INSA_IiEEEESE_NS0_4lessIiEENS2_23serial_set_intersectionENS5_6detail19lookback_scan_stateIlLb0ELb1EEEEEvT1_T2_T3_T4_T6_T7_T8_T9_PNS0_4pairIT5_SW_EEPSW_T10_NSK_16ordered_block_idIjEE,"axG",@progbits,_ZN6thrust23THRUST_200600_302600_NS11hip_rocprim16__set_operations22lookback_set_op_kernelIN7rocprim17ROCPRIM_400000_NS13kernel_configILj256ELj16ELj4294967295EEELb0ENS0_6detail15normal_iteratorINS0_10device_ptrIKiEEEESD_PiSE_lNS9_INSA_IiEEEESE_NS0_4lessIiEENS2_23serial_set_intersectionENS5_6detail19lookback_scan_stateIlLb0ELb1EEEEEvT1_T2_T3_T4_T6_T7_T8_T9_PNS0_4pairIT5_SW_EEPSW_T10_NSK_16ordered_block_idIjEE,comdat
.Lfunc_end23:
	.size	_ZN6thrust23THRUST_200600_302600_NS11hip_rocprim16__set_operations22lookback_set_op_kernelIN7rocprim17ROCPRIM_400000_NS13kernel_configILj256ELj16ELj4294967295EEELb0ENS0_6detail15normal_iteratorINS0_10device_ptrIKiEEEESD_PiSE_lNS9_INSA_IiEEEESE_NS0_4lessIiEENS2_23serial_set_intersectionENS5_6detail19lookback_scan_stateIlLb0ELb1EEEEEvT1_T2_T3_T4_T6_T7_T8_T9_PNS0_4pairIT5_SW_EEPSW_T10_NSK_16ordered_block_idIjEE, .Lfunc_end23-_ZN6thrust23THRUST_200600_302600_NS11hip_rocprim16__set_operations22lookback_set_op_kernelIN7rocprim17ROCPRIM_400000_NS13kernel_configILj256ELj16ELj4294967295EEELb0ENS0_6detail15normal_iteratorINS0_10device_ptrIKiEEEESD_PiSE_lNS9_INSA_IiEEEESE_NS0_4lessIiEENS2_23serial_set_intersectionENS5_6detail19lookback_scan_stateIlLb0ELb1EEEEEvT1_T2_T3_T4_T6_T7_T8_T9_PNS0_4pairIT5_SW_EEPSW_T10_NSK_16ordered_block_idIjEE
                                        ; -- End function
	.section	.AMDGPU.csdata,"",@progbits
; Kernel info:
; codeLenInByte = 20432
; NumSgprs: 46
; NumVgprs: 74
; ScratchSize: 0
; MemoryBound: 0
; FloatMode: 240
; IeeeMode: 1
; LDSByteSize: 36868 bytes/workgroup (compile time only)
; SGPRBlocks: 5
; VGPRBlocks: 9
; NumSGPRsForWavesPerEU: 46
; NumVGPRsForWavesPerEU: 74
; Occupancy: 6
; WaveLimiterHint : 1
; COMPUTE_PGM_RSRC2:SCRATCH_EN: 0
; COMPUTE_PGM_RSRC2:USER_SGPR: 15
; COMPUTE_PGM_RSRC2:TRAP_HANDLER: 0
; COMPUTE_PGM_RSRC2:TGID_X_EN: 1
; COMPUTE_PGM_RSRC2:TGID_Y_EN: 0
; COMPUTE_PGM_RSRC2:TGID_Z_EN: 0
; COMPUTE_PGM_RSRC2:TIDIG_COMP_CNT: 2
	.section	.text._ZN6thrust23THRUST_200600_302600_NS11hip_rocprim14__parallel_for6kernelILj256EZNS1_16__set_operations9doit_stepILb0ENS0_6detail15normal_iteratorINS0_10device_ptrIKiEEEESB_PiSC_lNS7_INS8_IiEEEESC_NS0_4lessIiEENS4_21serial_set_differenceEEE10hipError_tPvRmT0_T1_T2_T3_T4_SP_T5_T6_PSP_T7_T8_P12ihipStream_tbEUllE_jLj1EEEvSL_SM_SM_,"axG",@progbits,_ZN6thrust23THRUST_200600_302600_NS11hip_rocprim14__parallel_for6kernelILj256EZNS1_16__set_operations9doit_stepILb0ENS0_6detail15normal_iteratorINS0_10device_ptrIKiEEEESB_PiSC_lNS7_INS8_IiEEEESC_NS0_4lessIiEENS4_21serial_set_differenceEEE10hipError_tPvRmT0_T1_T2_T3_T4_SP_T5_T6_PSP_T7_T8_P12ihipStream_tbEUllE_jLj1EEEvSL_SM_SM_,comdat
	.protected	_ZN6thrust23THRUST_200600_302600_NS11hip_rocprim14__parallel_for6kernelILj256EZNS1_16__set_operations9doit_stepILb0ENS0_6detail15normal_iteratorINS0_10device_ptrIKiEEEESB_PiSC_lNS7_INS8_IiEEEESC_NS0_4lessIiEENS4_21serial_set_differenceEEE10hipError_tPvRmT0_T1_T2_T3_T4_SP_T5_T6_PSP_T7_T8_P12ihipStream_tbEUllE_jLj1EEEvSL_SM_SM_ ; -- Begin function _ZN6thrust23THRUST_200600_302600_NS11hip_rocprim14__parallel_for6kernelILj256EZNS1_16__set_operations9doit_stepILb0ENS0_6detail15normal_iteratorINS0_10device_ptrIKiEEEESB_PiSC_lNS7_INS8_IiEEEESC_NS0_4lessIiEENS4_21serial_set_differenceEEE10hipError_tPvRmT0_T1_T2_T3_T4_SP_T5_T6_PSP_T7_T8_P12ihipStream_tbEUllE_jLj1EEEvSL_SM_SM_
	.globl	_ZN6thrust23THRUST_200600_302600_NS11hip_rocprim14__parallel_for6kernelILj256EZNS1_16__set_operations9doit_stepILb0ENS0_6detail15normal_iteratorINS0_10device_ptrIKiEEEESB_PiSC_lNS7_INS8_IiEEEESC_NS0_4lessIiEENS4_21serial_set_differenceEEE10hipError_tPvRmT0_T1_T2_T3_T4_SP_T5_T6_PSP_T7_T8_P12ihipStream_tbEUllE_jLj1EEEvSL_SM_SM_
	.p2align	8
	.type	_ZN6thrust23THRUST_200600_302600_NS11hip_rocprim14__parallel_for6kernelILj256EZNS1_16__set_operations9doit_stepILb0ENS0_6detail15normal_iteratorINS0_10device_ptrIKiEEEESB_PiSC_lNS7_INS8_IiEEEESC_NS0_4lessIiEENS4_21serial_set_differenceEEE10hipError_tPvRmT0_T1_T2_T3_T4_SP_T5_T6_PSP_T7_T8_P12ihipStream_tbEUllE_jLj1EEEvSL_SM_SM_,@function
_ZN6thrust23THRUST_200600_302600_NS11hip_rocprim14__parallel_for6kernelILj256EZNS1_16__set_operations9doit_stepILb0ENS0_6detail15normal_iteratorINS0_10device_ptrIKiEEEESB_PiSC_lNS7_INS8_IiEEEESC_NS0_4lessIiEENS4_21serial_set_differenceEEE10hipError_tPvRmT0_T1_T2_T3_T4_SP_T5_T6_PSP_T7_T8_P12ihipStream_tbEUllE_jLj1EEEvSL_SM_SM_: ; @_ZN6thrust23THRUST_200600_302600_NS11hip_rocprim14__parallel_for6kernelILj256EZNS1_16__set_operations9doit_stepILb0ENS0_6detail15normal_iteratorINS0_10device_ptrIKiEEEESB_PiSC_lNS7_INS8_IiEEEESC_NS0_4lessIiEENS4_21serial_set_differenceEEE10hipError_tPvRmT0_T1_T2_T3_T4_SP_T5_T6_PSP_T7_T8_P12ihipStream_tbEUllE_jLj1EEEvSL_SM_SM_
; %bb.0:
	s_clause 0x2
	s_load_b64 s[12:13], s[0:1], 0x30
	s_load_b64 s[2:3], s[0:1], 0x20
	s_load_b256 s[4:11], s[0:1], 0x0
	s_lshl_b32 s1, s15, 8
	s_waitcnt lgkmcnt(0)
	s_add_i32 s1, s1, s13
	s_delay_alu instid0(SALU_CYCLE_1) | instskip(NEXT) | instid1(SALU_CYCLE_1)
	s_sub_i32 s0, s12, s1
	s_cmpk_lt_u32 s0, 0x100
	s_cbranch_scc0 .LBB24_12
; %bb.1:
	v_cmp_gt_u32_e32 vcc_lo, s0, v0
	s_mov_b32 s12, 0
	s_mov_b32 s0, 0
                                        ; implicit-def: $vgpr3_vgpr4
                                        ; implicit-def: $vgpr5_vgpr6
	s_and_saveexec_b32 s13, vcc_lo
	s_cbranch_execz .LBB24_13
; %bb.2:
	v_add_nc_u32_e32 v5, s1, v0
	s_add_u32 s14, s6, s4
	s_addc_u32 s15, s7, s5
	v_mov_b32_e32 v6, 0
	s_delay_alu instid0(VALU_DEP_2) | instskip(NEXT) | instid1(VALU_DEP_1)
	v_mad_u64_u32 v[1:2], null, 0xfff, v5, 0
	v_cmp_lt_i64_e32 vcc_lo, s[14:15], v[1:2]
	v_cndmask_b32_e64 v3, v1, s14, vcc_lo
	v_cndmask_b32_e64 v4, v2, s15, vcc_lo
	s_mov_b32 s14, 0
	s_delay_alu instid0(VALU_DEP_2) | instskip(NEXT) | instid1(VALU_DEP_2)
	v_sub_co_u32 v1, vcc_lo, v3, s6
	v_subrev_co_ci_u32_e32 v2, vcc_lo, s7, v4, vcc_lo
	v_cmp_lt_i64_e64 s0, s[4:5], v[3:4]
	s_delay_alu instid0(VALU_DEP_2) | instskip(NEXT) | instid1(VALU_DEP_2)
	v_cmp_lt_i64_e32 vcc_lo, 0, v[1:2]
	v_cndmask_b32_e64 v8, v4, s5, s0
	v_cndmask_b32_e64 v7, v3, s4, s0
	s_mov_b32 s0, exec_lo
	v_dual_cndmask_b32 v2, 0, v2 :: v_dual_cndmask_b32 v1, 0, v1
	s_delay_alu instid0(VALU_DEP_1)
	v_cmpx_lt_i64_e64 v[1:2], v[7:8]
	s_cbranch_execz .LBB24_6
; %bb.3:
	v_lshlrev_b64 v[9:10], 2, v[3:4]
	s_delay_alu instid0(VALU_DEP_1) | instskip(NEXT) | instid1(VALU_DEP_2)
	v_add_co_u32 v9, vcc_lo, s2, v9
	v_add_co_ci_u32_e32 v10, vcc_lo, s3, v10, vcc_lo
	s_set_inst_prefetch_distance 0x1
	.p2align	6
.LBB24_4:                               ; =>This Inner Loop Header: Depth=1
	v_add_co_u32 v11, vcc_lo, v7, v1
	v_add_co_ci_u32_e32 v12, vcc_lo, v8, v2, vcc_lo
	s_delay_alu instid0(VALU_DEP_1) | instskip(NEXT) | instid1(VALU_DEP_1)
	v_ashrrev_i64 v[11:12], 1, v[11:12]
	v_not_b32_e32 v14, v12
	s_delay_alu instid0(VALU_DEP_2) | instskip(SKIP_1) | instid1(VALU_DEP_2)
	v_not_b32_e32 v13, v11
	v_lshlrev_b64 v[15:16], 2, v[11:12]
	v_lshlrev_b64 v[13:14], 2, v[13:14]
	s_delay_alu instid0(VALU_DEP_2) | instskip(NEXT) | instid1(VALU_DEP_3)
	v_add_co_u32 v15, vcc_lo, s10, v15
	v_add_co_ci_u32_e32 v16, vcc_lo, s11, v16, vcc_lo
	s_delay_alu instid0(VALU_DEP_3) | instskip(NEXT) | instid1(VALU_DEP_4)
	v_add_co_u32 v13, vcc_lo, v9, v13
	v_add_co_ci_u32_e32 v14, vcc_lo, v10, v14, vcc_lo
	global_load_b32 v15, v[15:16], off
	global_load_b32 v13, v[13:14], off
	v_add_co_u32 v14, vcc_lo, v11, 1
	v_add_co_ci_u32_e32 v16, vcc_lo, 0, v12, vcc_lo
	s_waitcnt vmcnt(0)
	v_cmp_lt_i32_e32 vcc_lo, v13, v15
	v_dual_cndmask_b32 v8, v8, v12 :: v_dual_cndmask_b32 v7, v7, v11
	s_delay_alu instid0(VALU_DEP_3) | instskip(NEXT) | instid1(VALU_DEP_1)
	v_dual_cndmask_b32 v2, v16, v2 :: v_dual_cndmask_b32 v1, v14, v1
	v_cmp_ge_i64_e32 vcc_lo, v[1:2], v[7:8]
	s_or_b32 s14, vcc_lo, s14
	s_delay_alu instid0(SALU_CYCLE_1)
	s_and_not1_b32 exec_lo, exec_lo, s14
	s_cbranch_execnz .LBB24_4
; %bb.5:
	s_set_inst_prefetch_distance 0x2
	s_or_b32 exec_lo, exec_lo, s14
.LBB24_6:
	s_delay_alu instid0(SALU_CYCLE_1)
	s_or_b32 exec_lo, exec_lo, s0
	v_sub_co_u32 v11, vcc_lo, v3, v1
	v_mov_b32_e32 v9, 0
	v_sub_co_ci_u32_e32 v12, vcc_lo, v4, v2, vcc_lo
	v_mov_b32_e32 v10, 0
	s_mov_b32 s14, exec_lo
	s_delay_alu instid0(VALU_DEP_2)
	v_cmpx_gt_i64_e64 s[6:7], v[11:12]
	s_cbranch_execz .LBB24_38
; %bb.7:
	v_lshlrev_b64 v[7:8], 2, v[11:12]
	s_mov_b32 s0, exec_lo
	v_dual_mov_b32 v14, v2 :: v_dual_mov_b32 v13, v1
	s_delay_alu instid0(VALU_DEP_2) | instskip(NEXT) | instid1(VALU_DEP_3)
	v_add_co_u32 v9, vcc_lo, s2, v7
	v_add_co_ci_u32_e32 v10, vcc_lo, s3, v8, vcc_lo
	v_mov_b32_e32 v7, 0
	v_mov_b32_e32 v8, 0
	global_load_b32 v19, v[9:10], off
	v_cmpx_lt_i64_e32 0, v[1:2]
	s_cbranch_execnz .LBB24_14
; %bb.8:
	s_or_b32 exec_lo, exec_lo, s0
	s_delay_alu instid0(SALU_CYCLE_1)
	s_mov_b32 s0, exec_lo
	v_cmpx_lt_i64_e64 v[7:8], v[13:14]
	s_cbranch_execnz .LBB24_15
.LBB24_9:
	s_or_b32 exec_lo, exec_lo, s0
	s_delay_alu instid0(SALU_CYCLE_1)
	s_mov_b32 s0, exec_lo
	v_cmpx_lt_i64_e64 v[7:8], v[13:14]
	s_cbranch_execnz .LBB24_16
.LBB24_10:
	s_or_b32 exec_lo, exec_lo, s0
	s_delay_alu instid0(SALU_CYCLE_1)
	s_mov_b32 s0, exec_lo
	v_cmpx_lt_i64_e64 v[7:8], v[13:14]
	s_cbranch_execnz .LBB24_17
.LBB24_11:
	s_or_b32 exec_lo, exec_lo, s0
	s_delay_alu instid0(SALU_CYCLE_1)
	s_mov_b32 s0, exec_lo
	v_cmpx_lt_i64_e64 v[7:8], v[13:14]
	s_cbranch_execnz .LBB24_18
	s_branch .LBB24_21
.LBB24_12:
	s_mov_b32 s0, 0
                                        ; implicit-def: $vgpr3_vgpr4
                                        ; implicit-def: $vgpr5_vgpr6
	s_cbranch_execnz .LBB24_39
	s_branch .LBB24_74
.LBB24_13:
	s_or_b32 exec_lo, exec_lo, s13
	s_delay_alu instid0(SALU_CYCLE_1)
	s_and_b32 vcc_lo, exec_lo, s12
	s_cbranch_vccnz .LBB24_39
	s_branch .LBB24_74
.LBB24_14:
	v_mad_u64_u32 v[7:8], null, 0x1ff, v1, 0
	s_delay_alu instid0(VALU_DEP_1) | instskip(NEXT) | instid1(VALU_DEP_1)
	v_mad_u64_u32 v[13:14], null, 0x1ff, v2, v[8:9]
	v_mov_b32_e32 v8, v13
	s_delay_alu instid0(VALU_DEP_1) | instskip(NEXT) | instid1(VALU_DEP_1)
	v_lshrrev_b64 v[13:14], 9, v[7:8]
	v_lshlrev_b64 v[7:8], 2, v[13:14]
	s_delay_alu instid0(VALU_DEP_1) | instskip(NEXT) | instid1(VALU_DEP_2)
	v_add_co_u32 v7, vcc_lo, s10, v7
	v_add_co_ci_u32_e32 v8, vcc_lo, s11, v8, vcc_lo
	v_add_co_u32 v15, vcc_lo, v13, 1
	global_load_b32 v7, v[7:8], off
	v_add_co_ci_u32_e32 v8, vcc_lo, 0, v14, vcc_lo
	s_waitcnt vmcnt(0)
	v_cmp_lt_i32_e32 vcc_lo, v7, v19
	s_delay_alu instid0(VALU_DEP_2) | instskip(SKIP_2) | instid1(SALU_CYCLE_1)
	v_dual_cndmask_b32 v7, 0, v15 :: v_dual_cndmask_b32 v8, 0, v8
	v_dual_cndmask_b32 v13, v13, v1 :: v_dual_cndmask_b32 v14, v14, v2
	s_or_b32 exec_lo, exec_lo, s0
	s_mov_b32 s0, exec_lo
	s_delay_alu instid0(VALU_DEP_1)
	v_cmpx_lt_i64_e64 v[7:8], v[13:14]
	s_cbranch_execz .LBB24_9
.LBB24_15:
	v_mad_u64_u32 v[15:16], null, 0x7f, v13, v[7:8]
	s_delay_alu instid0(VALU_DEP_1) | instskip(NEXT) | instid1(VALU_DEP_1)
	v_mad_u64_u32 v[17:18], null, 0x7f, v14, v[16:17]
	v_mov_b32_e32 v16, v17
	s_delay_alu instid0(VALU_DEP_1) | instskip(NEXT) | instid1(VALU_DEP_1)
	v_lshrrev_b64 v[15:16], 7, v[15:16]
	v_lshlrev_b64 v[17:18], 2, v[15:16]
	s_delay_alu instid0(VALU_DEP_1) | instskip(NEXT) | instid1(VALU_DEP_2)
	v_add_co_u32 v17, vcc_lo, s10, v17
	v_add_co_ci_u32_e32 v18, vcc_lo, s11, v18, vcc_lo
	global_load_b32 v17, v[17:18], off
	v_add_co_u32 v18, vcc_lo, v15, 1
	v_add_co_ci_u32_e32 v20, vcc_lo, 0, v16, vcc_lo
	s_waitcnt vmcnt(0)
	v_cmp_lt_i32_e32 vcc_lo, v17, v19
	s_delay_alu instid0(VALU_DEP_2) | instskip(SKIP_2) | instid1(SALU_CYCLE_1)
	v_dual_cndmask_b32 v7, v7, v18 :: v_dual_cndmask_b32 v8, v8, v20
	v_dual_cndmask_b32 v13, v15, v13 :: v_dual_cndmask_b32 v14, v16, v14
	s_or_b32 exec_lo, exec_lo, s0
	s_mov_b32 s0, exec_lo
	s_delay_alu instid0(VALU_DEP_1)
	v_cmpx_lt_i64_e64 v[7:8], v[13:14]
	s_cbranch_execz .LBB24_10
.LBB24_16:
	v_mad_u64_u32 v[15:16], null, v13, 31, v[7:8]
	s_delay_alu instid0(VALU_DEP_1) | instskip(NEXT) | instid1(VALU_DEP_1)
	v_mad_u64_u32 v[17:18], null, v14, 31, v[16:17]
	v_mov_b32_e32 v16, v17
	s_delay_alu instid0(VALU_DEP_1) | instskip(NEXT) | instid1(VALU_DEP_1)
	v_lshrrev_b64 v[15:16], 5, v[15:16]
	v_lshlrev_b64 v[17:18], 2, v[15:16]
	s_delay_alu instid0(VALU_DEP_1) | instskip(NEXT) | instid1(VALU_DEP_2)
	v_add_co_u32 v17, vcc_lo, s10, v17
	v_add_co_ci_u32_e32 v18, vcc_lo, s11, v18, vcc_lo
	global_load_b32 v17, v[17:18], off
	v_add_co_u32 v18, vcc_lo, v15, 1
	v_add_co_ci_u32_e32 v20, vcc_lo, 0, v16, vcc_lo
	s_waitcnt vmcnt(0)
	v_cmp_lt_i32_e32 vcc_lo, v17, v19
	s_delay_alu instid0(VALU_DEP_2) | instskip(SKIP_2) | instid1(SALU_CYCLE_1)
	v_dual_cndmask_b32 v7, v7, v18 :: v_dual_cndmask_b32 v8, v8, v20
	v_dual_cndmask_b32 v13, v15, v13 :: v_dual_cndmask_b32 v14, v16, v14
	s_or_b32 exec_lo, exec_lo, s0
	s_mov_b32 s0, exec_lo
	s_delay_alu instid0(VALU_DEP_1)
	v_cmpx_lt_i64_e64 v[7:8], v[13:14]
	s_cbranch_execz .LBB24_11
.LBB24_17:
	v_mad_u64_u32 v[15:16], null, v13, 15, v[7:8]
	s_delay_alu instid0(VALU_DEP_1) | instskip(NEXT) | instid1(VALU_DEP_1)
	v_mad_u64_u32 v[17:18], null, v14, 15, v[16:17]
	v_mov_b32_e32 v16, v17
	s_delay_alu instid0(VALU_DEP_1) | instskip(NEXT) | instid1(VALU_DEP_1)
	v_lshrrev_b64 v[15:16], 4, v[15:16]
	v_lshlrev_b64 v[17:18], 2, v[15:16]
	s_delay_alu instid0(VALU_DEP_1) | instskip(NEXT) | instid1(VALU_DEP_2)
	v_add_co_u32 v17, vcc_lo, s10, v17
	v_add_co_ci_u32_e32 v18, vcc_lo, s11, v18, vcc_lo
	global_load_b32 v17, v[17:18], off
	v_add_co_u32 v18, vcc_lo, v15, 1
	v_add_co_ci_u32_e32 v20, vcc_lo, 0, v16, vcc_lo
	s_waitcnt vmcnt(0)
	v_cmp_lt_i32_e32 vcc_lo, v17, v19
	s_delay_alu instid0(VALU_DEP_2) | instskip(SKIP_2) | instid1(SALU_CYCLE_1)
	v_dual_cndmask_b32 v7, v7, v18 :: v_dual_cndmask_b32 v8, v8, v20
	v_dual_cndmask_b32 v13, v15, v13 :: v_dual_cndmask_b32 v14, v16, v14
	s_or_b32 exec_lo, exec_lo, s0
	s_mov_b32 s0, exec_lo
	s_delay_alu instid0(VALU_DEP_1)
	v_cmpx_lt_i64_e64 v[7:8], v[13:14]
	s_cbranch_execz .LBB24_21
.LBB24_18:
	s_mov_b32 s15, 0
	.p2align	6
.LBB24_19:                              ; =>This Inner Loop Header: Depth=1
	v_add_co_u32 v15, vcc_lo, v7, v13
	v_add_co_ci_u32_e32 v16, vcc_lo, v8, v14, vcc_lo
	s_delay_alu instid0(VALU_DEP_1) | instskip(NEXT) | instid1(VALU_DEP_1)
	v_ashrrev_i64 v[15:16], 1, v[15:16]
	v_lshlrev_b64 v[17:18], 2, v[15:16]
	s_delay_alu instid0(VALU_DEP_1) | instskip(NEXT) | instid1(VALU_DEP_2)
	v_add_co_u32 v17, vcc_lo, s10, v17
	v_add_co_ci_u32_e32 v18, vcc_lo, s11, v18, vcc_lo
	global_load_b32 v17, v[17:18], off
	v_add_co_u32 v18, vcc_lo, v15, 1
	v_add_co_ci_u32_e32 v20, vcc_lo, 0, v16, vcc_lo
	s_waitcnt vmcnt(0)
	v_cmp_lt_i32_e32 vcc_lo, v17, v19
	s_delay_alu instid0(VALU_DEP_2) | instskip(SKIP_1) | instid1(VALU_DEP_1)
	v_dual_cndmask_b32 v8, v8, v20 :: v_dual_cndmask_b32 v7, v7, v18
	v_dual_cndmask_b32 v14, v16, v14 :: v_dual_cndmask_b32 v13, v15, v13
	v_cmp_ge_i64_e32 vcc_lo, v[7:8], v[13:14]
	s_or_b32 s15, vcc_lo, s15
	s_delay_alu instid0(SALU_CYCLE_1)
	s_and_not1_b32 exec_lo, exec_lo, s15
	s_cbranch_execnz .LBB24_19
; %bb.20:
	s_or_b32 exec_lo, exec_lo, s15
.LBB24_21:
	s_delay_alu instid0(SALU_CYCLE_1)
	s_or_b32 exec_lo, exec_lo, s0
	v_dual_mov_b32 v13, 0 :: v_dual_mov_b32 v16, v12
	v_dual_mov_b32 v14, 0 :: v_dual_mov_b32 v15, v11
	s_mov_b32 s0, exec_lo
	v_cmpx_lt_i64_e32 0, v[11:12]
	s_cbranch_execnz .LBB24_26
; %bb.22:
	s_or_b32 exec_lo, exec_lo, s0
	s_delay_alu instid0(SALU_CYCLE_1)
	s_mov_b32 s0, exec_lo
	v_cmpx_lt_i64_e64 v[13:14], v[15:16]
	s_cbranch_execnz .LBB24_27
.LBB24_23:
	s_or_b32 exec_lo, exec_lo, s0
	s_delay_alu instid0(SALU_CYCLE_1)
	s_mov_b32 s0, exec_lo
	v_cmpx_lt_i64_e64 v[13:14], v[15:16]
	s_cbranch_execnz .LBB24_28
.LBB24_24:
	s_or_b32 exec_lo, exec_lo, s0
	s_delay_alu instid0(SALU_CYCLE_1)
	s_mov_b32 s0, exec_lo
	v_cmpx_lt_i64_e64 v[13:14], v[15:16]
	s_cbranch_execnz .LBB24_29
.LBB24_25:
	s_or_b32 exec_lo, exec_lo, s0
	s_delay_alu instid0(SALU_CYCLE_1)
	s_mov_b32 s0, exec_lo
	v_cmpx_lt_i64_e64 v[13:14], v[15:16]
	s_cbranch_execnz .LBB24_30
	s_branch .LBB24_33
.LBB24_26:
	v_mad_u64_u32 v[13:14], null, 0x1ff, v11, 0
	s_delay_alu instid0(VALU_DEP_1) | instskip(NEXT) | instid1(VALU_DEP_1)
	v_mad_u64_u32 v[15:16], null, 0x1ff, v12, v[14:15]
	v_mov_b32_e32 v14, v15
	s_delay_alu instid0(VALU_DEP_1) | instskip(NEXT) | instid1(VALU_DEP_1)
	v_lshrrev_b64 v[15:16], 9, v[13:14]
	v_lshlrev_b64 v[13:14], 2, v[15:16]
	s_delay_alu instid0(VALU_DEP_1) | instskip(NEXT) | instid1(VALU_DEP_2)
	v_add_co_u32 v13, vcc_lo, s2, v13
	v_add_co_ci_u32_e32 v14, vcc_lo, s3, v14, vcc_lo
	v_add_co_u32 v17, vcc_lo, v15, 1
	global_load_b32 v13, v[13:14], off
	v_add_co_ci_u32_e32 v14, vcc_lo, 0, v16, vcc_lo
	s_waitcnt vmcnt(0)
	v_cmp_lt_i32_e32 vcc_lo, v13, v19
	s_delay_alu instid0(VALU_DEP_2) | instskip(SKIP_2) | instid1(SALU_CYCLE_1)
	v_dual_cndmask_b32 v13, 0, v17 :: v_dual_cndmask_b32 v14, 0, v14
	v_dual_cndmask_b32 v15, v15, v11 :: v_dual_cndmask_b32 v16, v16, v12
	s_or_b32 exec_lo, exec_lo, s0
	s_mov_b32 s0, exec_lo
	s_delay_alu instid0(VALU_DEP_1)
	v_cmpx_lt_i64_e64 v[13:14], v[15:16]
	s_cbranch_execz .LBB24_23
.LBB24_27:
	v_mad_u64_u32 v[17:18], null, 0x7f, v15, v[13:14]
	s_waitcnt vmcnt(0)
	s_delay_alu instid0(VALU_DEP_1) | instskip(NEXT) | instid1(VALU_DEP_1)
	v_mad_u64_u32 v[20:21], null, 0x7f, v16, v[18:19]
	v_mov_b32_e32 v18, v20
	s_delay_alu instid0(VALU_DEP_1) | instskip(NEXT) | instid1(VALU_DEP_1)
	v_lshrrev_b64 v[17:18], 7, v[17:18]
	v_lshlrev_b64 v[20:21], 2, v[17:18]
	s_delay_alu instid0(VALU_DEP_1) | instskip(NEXT) | instid1(VALU_DEP_2)
	v_add_co_u32 v20, vcc_lo, s2, v20
	v_add_co_ci_u32_e32 v21, vcc_lo, s3, v21, vcc_lo
	global_load_b32 v20, v[20:21], off
	v_add_co_u32 v21, vcc_lo, v17, 1
	v_add_co_ci_u32_e32 v22, vcc_lo, 0, v18, vcc_lo
	s_waitcnt vmcnt(0)
	v_cmp_lt_i32_e32 vcc_lo, v20, v19
	s_delay_alu instid0(VALU_DEP_2) | instskip(SKIP_2) | instid1(SALU_CYCLE_1)
	v_dual_cndmask_b32 v13, v13, v21 :: v_dual_cndmask_b32 v14, v14, v22
	v_dual_cndmask_b32 v15, v17, v15 :: v_dual_cndmask_b32 v16, v18, v16
	s_or_b32 exec_lo, exec_lo, s0
	s_mov_b32 s0, exec_lo
	s_delay_alu instid0(VALU_DEP_1)
	v_cmpx_lt_i64_e64 v[13:14], v[15:16]
	s_cbranch_execz .LBB24_24
.LBB24_28:
	v_mad_u64_u32 v[17:18], null, v15, 31, v[13:14]
	s_waitcnt vmcnt(0)
	s_delay_alu instid0(VALU_DEP_1) | instskip(NEXT) | instid1(VALU_DEP_1)
	v_mad_u64_u32 v[20:21], null, v16, 31, v[18:19]
	v_mov_b32_e32 v18, v20
	s_delay_alu instid0(VALU_DEP_1) | instskip(NEXT) | instid1(VALU_DEP_1)
	v_lshrrev_b64 v[17:18], 5, v[17:18]
	v_lshlrev_b64 v[20:21], 2, v[17:18]
	s_delay_alu instid0(VALU_DEP_1) | instskip(NEXT) | instid1(VALU_DEP_2)
	v_add_co_u32 v20, vcc_lo, s2, v20
	v_add_co_ci_u32_e32 v21, vcc_lo, s3, v21, vcc_lo
	global_load_b32 v20, v[20:21], off
	v_add_co_u32 v21, vcc_lo, v17, 1
	v_add_co_ci_u32_e32 v22, vcc_lo, 0, v18, vcc_lo
	s_waitcnt vmcnt(0)
	v_cmp_lt_i32_e32 vcc_lo, v20, v19
	s_delay_alu instid0(VALU_DEP_2) | instskip(SKIP_2) | instid1(SALU_CYCLE_1)
	v_dual_cndmask_b32 v13, v13, v21 :: v_dual_cndmask_b32 v14, v14, v22
	v_dual_cndmask_b32 v15, v17, v15 :: v_dual_cndmask_b32 v16, v18, v16
	s_or_b32 exec_lo, exec_lo, s0
	s_mov_b32 s0, exec_lo
	s_delay_alu instid0(VALU_DEP_1)
	v_cmpx_lt_i64_e64 v[13:14], v[15:16]
	s_cbranch_execz .LBB24_25
.LBB24_29:
	v_mad_u64_u32 v[17:18], null, v15, 15, v[13:14]
	s_waitcnt vmcnt(0)
	s_delay_alu instid0(VALU_DEP_1) | instskip(NEXT) | instid1(VALU_DEP_1)
	v_mad_u64_u32 v[20:21], null, v16, 15, v[18:19]
	v_mov_b32_e32 v18, v20
	s_delay_alu instid0(VALU_DEP_1) | instskip(NEXT) | instid1(VALU_DEP_1)
	v_lshrrev_b64 v[17:18], 4, v[17:18]
	v_lshlrev_b64 v[20:21], 2, v[17:18]
	s_delay_alu instid0(VALU_DEP_1) | instskip(NEXT) | instid1(VALU_DEP_2)
	v_add_co_u32 v20, vcc_lo, s2, v20
	v_add_co_ci_u32_e32 v21, vcc_lo, s3, v21, vcc_lo
	global_load_b32 v20, v[20:21], off
	v_add_co_u32 v21, vcc_lo, v17, 1
	v_add_co_ci_u32_e32 v22, vcc_lo, 0, v18, vcc_lo
	s_waitcnt vmcnt(0)
	v_cmp_lt_i32_e32 vcc_lo, v20, v19
	s_delay_alu instid0(VALU_DEP_2) | instskip(SKIP_2) | instid1(SALU_CYCLE_1)
	v_dual_cndmask_b32 v13, v13, v21 :: v_dual_cndmask_b32 v14, v14, v22
	v_dual_cndmask_b32 v15, v17, v15 :: v_dual_cndmask_b32 v16, v18, v16
	s_or_b32 exec_lo, exec_lo, s0
	s_mov_b32 s0, exec_lo
	s_delay_alu instid0(VALU_DEP_1)
	v_cmpx_lt_i64_e64 v[13:14], v[15:16]
	s_cbranch_execz .LBB24_33
.LBB24_30:
	s_mov_b32 s15, 0
	.p2align	6
.LBB24_31:                              ; =>This Inner Loop Header: Depth=1
	v_add_co_u32 v17, vcc_lo, v13, v15
	v_add_co_ci_u32_e32 v18, vcc_lo, v14, v16, vcc_lo
	s_delay_alu instid0(VALU_DEP_1) | instskip(NEXT) | instid1(VALU_DEP_1)
	v_ashrrev_i64 v[17:18], 1, v[17:18]
	v_lshlrev_b64 v[20:21], 2, v[17:18]
	s_delay_alu instid0(VALU_DEP_1) | instskip(NEXT) | instid1(VALU_DEP_2)
	v_add_co_u32 v20, vcc_lo, s2, v20
	v_add_co_ci_u32_e32 v21, vcc_lo, s3, v21, vcc_lo
	global_load_b32 v20, v[20:21], off
	v_add_co_u32 v21, vcc_lo, v17, 1
	v_add_co_ci_u32_e32 v22, vcc_lo, 0, v18, vcc_lo
	s_waitcnt vmcnt(0)
	v_cmp_lt_i32_e32 vcc_lo, v20, v19
	s_delay_alu instid0(VALU_DEP_2) | instskip(SKIP_1) | instid1(VALU_DEP_1)
	v_dual_cndmask_b32 v14, v14, v22 :: v_dual_cndmask_b32 v13, v13, v21
	v_dual_cndmask_b32 v16, v18, v16 :: v_dual_cndmask_b32 v15, v17, v15
	v_cmp_ge_i64_e32 vcc_lo, v[13:14], v[15:16]
	s_or_b32 s15, vcc_lo, s15
	s_delay_alu instid0(SALU_CYCLE_1)
	s_and_not1_b32 exec_lo, exec_lo, s15
	s_cbranch_execnz .LBB24_31
; %bb.32:
	s_or_b32 exec_lo, exec_lo, s15
.LBB24_33:
	s_delay_alu instid0(SALU_CYCLE_1)
	s_or_b32 exec_lo, exec_lo, s0
	v_sub_co_u32 v1, vcc_lo, v1, v7
	v_sub_co_ci_u32_e32 v2, vcc_lo, v2, v8, vcc_lo
	v_sub_co_u32 v17, vcc_lo, v11, v13
	v_sub_co_ci_u32_e32 v18, vcc_lo, v12, v14, vcc_lo
	s_mov_b32 s0, exec_lo
	s_delay_alu instid0(VALU_DEP_2) | instskip(NEXT) | instid1(VALU_DEP_2)
	v_add_co_u32 v15, vcc_lo, v17, v1
	v_add_co_ci_u32_e32 v16, vcc_lo, v18, v2, vcc_lo
	s_delay_alu instid0(VALU_DEP_1) | instskip(NEXT) | instid1(VALU_DEP_1)
	v_ashrrev_i64 v[1:2], 1, v[15:16]
	v_cmp_gt_i64_e32 vcc_lo, v[1:2], v[17:18]
	v_dual_cndmask_b32 v2, v18, v2 :: v_dual_cndmask_b32 v1, v17, v1
	s_delay_alu instid0(VALU_DEP_1) | instskip(NEXT) | instid1(VALU_DEP_2)
	v_add_co_u32 v13, vcc_lo, v13, v1
	v_add_co_ci_u32_e32 v14, vcc_lo, v14, v2, vcc_lo
	s_delay_alu instid0(VALU_DEP_2) | instskip(NEXT) | instid1(VALU_DEP_2)
	v_add_co_u32 v13, vcc_lo, v13, 1
	v_add_co_ci_u32_e32 v14, vcc_lo, 0, v14, vcc_lo
	s_delay_alu instid0(VALU_DEP_1) | instskip(SKIP_2) | instid1(VALU_DEP_2)
	v_cmp_gt_i64_e32 vcc_lo, s[6:7], v[13:14]
	v_cndmask_b32_e32 v13, s6, v13, vcc_lo
	v_cndmask_b32_e32 v14, s7, v14, vcc_lo
	v_sub_co_u32 v13, vcc_lo, v13, v11
	s_delay_alu instid0(VALU_DEP_2) | instskip(SKIP_2) | instid1(VALU_DEP_3)
	v_sub_co_ci_u32_e32 v14, vcc_lo, v14, v12, vcc_lo
	v_mov_b32_e32 v11, 0
	v_mov_b32_e32 v12, 0
	v_cmpx_lt_i64_e32 0, v[13:14]
	s_cbranch_execz .LBB24_37
; %bb.34:
	v_mov_b32_e32 v11, 0
	v_mov_b32_e32 v12, 0
	s_mov_b32 s15, 0
	.p2align	6
.LBB24_35:                              ; =>This Inner Loop Header: Depth=1
	s_delay_alu instid0(VALU_DEP_2) | instskip(NEXT) | instid1(VALU_DEP_2)
	v_add_co_u32 v20, vcc_lo, v11, v13
	v_add_co_ci_u32_e32 v21, vcc_lo, v12, v14, vcc_lo
	s_delay_alu instid0(VALU_DEP_1) | instskip(NEXT) | instid1(VALU_DEP_1)
	v_ashrrev_i64 v[20:21], 1, v[20:21]
	v_lshlrev_b64 v[22:23], 2, v[20:21]
	s_delay_alu instid0(VALU_DEP_1) | instskip(NEXT) | instid1(VALU_DEP_2)
	v_add_co_u32 v22, vcc_lo, v9, v22
	v_add_co_ci_u32_e32 v23, vcc_lo, v10, v23, vcc_lo
	global_load_b32 v22, v[22:23], off
	v_add_co_u32 v23, vcc_lo, v20, 1
	v_add_co_ci_u32_e32 v24, vcc_lo, 0, v21, vcc_lo
	s_waitcnt vmcnt(0)
	v_cmp_gt_i32_e32 vcc_lo, v22, v19
	s_delay_alu instid0(VALU_DEP_2) | instskip(SKIP_1) | instid1(VALU_DEP_1)
	v_dual_cndmask_b32 v12, v24, v12 :: v_dual_cndmask_b32 v11, v23, v11
	v_dual_cndmask_b32 v14, v14, v21 :: v_dual_cndmask_b32 v13, v13, v20
	v_cmp_ge_i64_e32 vcc_lo, v[11:12], v[13:14]
	s_or_b32 s15, vcc_lo, s15
	s_delay_alu instid0(SALU_CYCLE_1)
	s_and_not1_b32 exec_lo, exec_lo, s15
	s_cbranch_execnz .LBB24_35
; %bb.36:
	s_or_b32 exec_lo, exec_lo, s15
	v_ashrrev_i32_e32 v12, 31, v11
.LBB24_37:
	s_or_b32 exec_lo, exec_lo, s0
	v_add_co_u32 v9, vcc_lo, v11, v17
	s_delay_alu instid0(VALU_DEP_2) | instskip(SKIP_1) | instid1(VALU_DEP_1)
	v_add_co_ci_u32_e32 v10, vcc_lo, v12, v18, vcc_lo
	s_mov_b32 s15, 0
	v_cmp_lt_i64_e32 vcc_lo, v[9:10], v[1:2]
	v_dual_cndmask_b32 v14, v2, v10 :: v_dual_cndmask_b32 v13, v1, v9
	s_delay_alu instid0(VALU_DEP_1) | instskip(NEXT) | instid1(VALU_DEP_2)
	v_sub_co_u32 v11, vcc_lo, v15, v13
	v_sub_co_ci_u32_e32 v12, vcc_lo, v16, v14, vcc_lo
	v_add_co_u32 v13, vcc_lo, v13, 1
	v_add_co_ci_u32_e32 v14, vcc_lo, 0, v14, vcc_lo
	v_cmp_lt_i64_e32 vcc_lo, v[1:2], v[9:10]
	v_mov_b32_e32 v10, s15
	s_delay_alu instid0(VALU_DEP_3) | instskip(NEXT) | instid1(VALU_DEP_1)
	v_cmp_eq_u64_e64 s0, v[11:12], v[13:14]
	s_and_b32 s0, s0, vcc_lo
	v_add_co_u32 v1, vcc_lo, v11, v7
	v_cndmask_b32_e64 v9, 0, 1, s0
	v_add_co_ci_u32_e32 v2, vcc_lo, v12, v8, vcc_lo
.LBB24_38:
	s_or_b32 exec_lo, exec_lo, s14
	s_delay_alu instid0(VALU_DEP_2) | instskip(SKIP_2) | instid1(VALU_DEP_2)
	v_add_co_u32 v3, vcc_lo, v9, v3
	v_add_co_ci_u32_e32 v4, vcc_lo, v10, v4, vcc_lo
	s_mov_b32 s0, exec_lo
	v_sub_co_u32 v3, vcc_lo, v3, v1
	s_delay_alu instid0(VALU_DEP_2) | instskip(SKIP_1) | instid1(SALU_CYCLE_1)
	v_sub_co_ci_u32_e32 v4, vcc_lo, v4, v2, vcc_lo
	s_or_b32 exec_lo, exec_lo, s13
	s_and_b32 vcc_lo, exec_lo, s12
	s_cbranch_vccz .LBB24_74
.LBB24_39:
	v_add_nc_u32_e32 v5, s1, v0
	s_add_u32 s0, s6, s4
	s_addc_u32 s1, s7, s5
	v_mov_b32_e32 v6, 0
	s_delay_alu instid0(VALU_DEP_2) | instskip(NEXT) | instid1(VALU_DEP_1)
	v_mad_u64_u32 v[0:1], null, 0xfff, v5, 0
	v_cmp_lt_i64_e32 vcc_lo, s[0:1], v[0:1]
	v_cndmask_b32_e64 v3, v0, s0, vcc_lo
	v_cndmask_b32_e64 v4, v1, s1, vcc_lo
	s_mov_b32 s1, 0
	s_delay_alu instid0(VALU_DEP_2) | instskip(NEXT) | instid1(VALU_DEP_2)
	v_sub_co_u32 v0, vcc_lo, v3, s6
	v_subrev_co_ci_u32_e32 v1, vcc_lo, s7, v4, vcc_lo
	v_cmp_lt_i64_e64 s0, s[4:5], v[3:4]
	s_delay_alu instid0(VALU_DEP_2) | instskip(NEXT) | instid1(VALU_DEP_2)
	v_cmp_lt_i64_e32 vcc_lo, 0, v[0:1]
	v_cndmask_b32_e64 v8, v4, s5, s0
	v_cndmask_b32_e64 v7, v3, s4, s0
	s_mov_b32 s0, exec_lo
	v_dual_cndmask_b32 v2, 0, v1 :: v_dual_cndmask_b32 v1, 0, v0
	s_delay_alu instid0(VALU_DEP_1)
	v_cmpx_lt_i64_e64 v[1:2], v[7:8]
	s_cbranch_execz .LBB24_43
; %bb.40:
	v_lshlrev_b64 v[9:10], 2, v[3:4]
	s_delay_alu instid0(VALU_DEP_1) | instskip(NEXT) | instid1(VALU_DEP_2)
	v_add_co_u32 v0, vcc_lo, s2, v9
	v_add_co_ci_u32_e32 v9, vcc_lo, s3, v10, vcc_lo
	s_set_inst_prefetch_distance 0x1
	.p2align	6
.LBB24_41:                              ; =>This Inner Loop Header: Depth=1
	v_add_co_u32 v10, vcc_lo, v7, v1
	v_add_co_ci_u32_e32 v11, vcc_lo, v8, v2, vcc_lo
	s_delay_alu instid0(VALU_DEP_1) | instskip(NEXT) | instid1(VALU_DEP_1)
	v_ashrrev_i64 v[10:11], 1, v[10:11]
	v_not_b32_e32 v13, v11
	s_delay_alu instid0(VALU_DEP_2) | instskip(SKIP_1) | instid1(VALU_DEP_2)
	v_not_b32_e32 v12, v10
	v_lshlrev_b64 v[14:15], 2, v[10:11]
	v_lshlrev_b64 v[12:13], 2, v[12:13]
	s_delay_alu instid0(VALU_DEP_2) | instskip(NEXT) | instid1(VALU_DEP_3)
	v_add_co_u32 v14, vcc_lo, s10, v14
	v_add_co_ci_u32_e32 v15, vcc_lo, s11, v15, vcc_lo
	s_delay_alu instid0(VALU_DEP_3) | instskip(NEXT) | instid1(VALU_DEP_4)
	v_add_co_u32 v12, vcc_lo, v0, v12
	v_add_co_ci_u32_e32 v13, vcc_lo, v9, v13, vcc_lo
	global_load_b32 v14, v[14:15], off
	global_load_b32 v12, v[12:13], off
	v_add_co_u32 v13, vcc_lo, v10, 1
	v_add_co_ci_u32_e32 v15, vcc_lo, 0, v11, vcc_lo
	s_waitcnt vmcnt(0)
	v_cmp_lt_i32_e32 vcc_lo, v12, v14
	v_dual_cndmask_b32 v8, v8, v11 :: v_dual_cndmask_b32 v7, v7, v10
	s_delay_alu instid0(VALU_DEP_3) | instskip(NEXT) | instid1(VALU_DEP_1)
	v_dual_cndmask_b32 v2, v15, v2 :: v_dual_cndmask_b32 v1, v13, v1
	v_cmp_ge_i64_e32 vcc_lo, v[1:2], v[7:8]
	s_or_b32 s1, vcc_lo, s1
	s_delay_alu instid0(SALU_CYCLE_1)
	s_and_not1_b32 exec_lo, exec_lo, s1
	s_cbranch_execnz .LBB24_41
; %bb.42:
	s_set_inst_prefetch_distance 0x2
	s_or_b32 exec_lo, exec_lo, s1
.LBB24_43:
	s_delay_alu instid0(SALU_CYCLE_1)
	s_or_b32 exec_lo, exec_lo, s0
	v_sub_co_u32 v11, vcc_lo, v3, v1
	v_mov_b32_e32 v9, 0
	v_sub_co_ci_u32_e32 v12, vcc_lo, v4, v2, vcc_lo
	v_mov_b32_e32 v10, 0
	s_mov_b32 s1, exec_lo
	s_delay_alu instid0(VALU_DEP_2)
	v_cmpx_gt_i64_e64 s[6:7], v[11:12]
	s_cbranch_execz .LBB24_73
; %bb.44:
	v_lshlrev_b64 v[7:8], 2, v[11:12]
	s_mov_b32 s0, exec_lo
	v_dual_mov_b32 v14, v2 :: v_dual_mov_b32 v13, v1
	s_delay_alu instid0(VALU_DEP_2) | instskip(NEXT) | instid1(VALU_DEP_3)
	v_add_co_u32 v9, vcc_lo, s2, v7
	v_add_co_ci_u32_e32 v10, vcc_lo, s3, v8, vcc_lo
	v_mov_b32_e32 v7, 0
	v_mov_b32_e32 v8, 0
	global_load_b32 v19, v[9:10], off
	v_cmpx_lt_i64_e32 0, v[1:2]
	s_cbranch_execnz .LBB24_49
; %bb.45:
	s_or_b32 exec_lo, exec_lo, s0
	s_delay_alu instid0(SALU_CYCLE_1)
	s_mov_b32 s0, exec_lo
	v_cmpx_lt_i64_e64 v[7:8], v[13:14]
	s_cbranch_execnz .LBB24_50
.LBB24_46:
	s_or_b32 exec_lo, exec_lo, s0
	s_delay_alu instid0(SALU_CYCLE_1)
	s_mov_b32 s0, exec_lo
	v_cmpx_lt_i64_e64 v[7:8], v[13:14]
	s_cbranch_execnz .LBB24_51
.LBB24_47:
	s_or_b32 exec_lo, exec_lo, s0
	s_delay_alu instid0(SALU_CYCLE_1)
	s_mov_b32 s0, exec_lo
	v_cmpx_lt_i64_e64 v[7:8], v[13:14]
	s_cbranch_execnz .LBB24_52
.LBB24_48:
	s_or_b32 exec_lo, exec_lo, s0
	s_delay_alu instid0(SALU_CYCLE_1)
	s_mov_b32 s0, exec_lo
	v_cmpx_lt_i64_e64 v[7:8], v[13:14]
	s_cbranch_execnz .LBB24_53
	s_branch .LBB24_56
.LBB24_49:
	v_mad_u64_u32 v[7:8], null, 0x1ff, v1, 0
	s_delay_alu instid0(VALU_DEP_1) | instskip(NEXT) | instid1(VALU_DEP_1)
	v_mov_b32_e32 v0, v8
	v_mad_u64_u32 v[13:14], null, 0x1ff, v2, v[0:1]
	s_delay_alu instid0(VALU_DEP_1) | instskip(NEXT) | instid1(VALU_DEP_1)
	v_mov_b32_e32 v8, v13
	v_lshrrev_b64 v[13:14], 9, v[7:8]
	s_delay_alu instid0(VALU_DEP_1) | instskip(NEXT) | instid1(VALU_DEP_1)
	v_lshlrev_b64 v[7:8], 2, v[13:14]
	v_add_co_u32 v7, vcc_lo, s10, v7
	s_delay_alu instid0(VALU_DEP_2)
	v_add_co_ci_u32_e32 v8, vcc_lo, s11, v8, vcc_lo
	global_load_b32 v0, v[7:8], off
	v_add_co_u32 v7, vcc_lo, v13, 1
	v_add_co_ci_u32_e32 v8, vcc_lo, 0, v14, vcc_lo
	s_waitcnt vmcnt(0)
	v_cmp_lt_i32_e32 vcc_lo, v0, v19
	s_delay_alu instid0(VALU_DEP_2) | instskip(SKIP_2) | instid1(SALU_CYCLE_1)
	v_dual_cndmask_b32 v7, 0, v7 :: v_dual_cndmask_b32 v8, 0, v8
	v_dual_cndmask_b32 v13, v13, v1 :: v_dual_cndmask_b32 v14, v14, v2
	s_or_b32 exec_lo, exec_lo, s0
	s_mov_b32 s0, exec_lo
	s_delay_alu instid0(VALU_DEP_1)
	v_cmpx_lt_i64_e64 v[7:8], v[13:14]
	s_cbranch_execz .LBB24_46
.LBB24_50:
	v_mad_u64_u32 v[15:16], null, 0x7f, v13, v[7:8]
	s_delay_alu instid0(VALU_DEP_1) | instskip(NEXT) | instid1(VALU_DEP_1)
	v_mov_b32_e32 v0, v16
	v_mad_u64_u32 v[16:17], null, 0x7f, v14, v[0:1]
	s_delay_alu instid0(VALU_DEP_1) | instskip(NEXT) | instid1(VALU_DEP_1)
	v_lshrrev_b64 v[15:16], 7, v[15:16]
	v_lshlrev_b64 v[17:18], 2, v[15:16]
	s_delay_alu instid0(VALU_DEP_1) | instskip(NEXT) | instid1(VALU_DEP_2)
	v_add_co_u32 v17, vcc_lo, s10, v17
	v_add_co_ci_u32_e32 v18, vcc_lo, s11, v18, vcc_lo
	global_load_b32 v0, v[17:18], off
	v_add_co_u32 v17, vcc_lo, v15, 1
	v_add_co_ci_u32_e32 v18, vcc_lo, 0, v16, vcc_lo
	s_waitcnt vmcnt(0)
	v_cmp_lt_i32_e32 vcc_lo, v0, v19
	s_delay_alu instid0(VALU_DEP_2) | instskip(SKIP_2) | instid1(SALU_CYCLE_1)
	v_dual_cndmask_b32 v7, v7, v17 :: v_dual_cndmask_b32 v8, v8, v18
	v_dual_cndmask_b32 v13, v15, v13 :: v_dual_cndmask_b32 v14, v16, v14
	s_or_b32 exec_lo, exec_lo, s0
	s_mov_b32 s0, exec_lo
	s_delay_alu instid0(VALU_DEP_1)
	v_cmpx_lt_i64_e64 v[7:8], v[13:14]
	s_cbranch_execz .LBB24_47
.LBB24_51:
	v_mad_u64_u32 v[15:16], null, v13, 31, v[7:8]
	s_delay_alu instid0(VALU_DEP_1) | instskip(NEXT) | instid1(VALU_DEP_1)
	v_mov_b32_e32 v0, v16
	v_mad_u64_u32 v[16:17], null, v14, 31, v[0:1]
	s_delay_alu instid0(VALU_DEP_1) | instskip(NEXT) | instid1(VALU_DEP_1)
	v_lshrrev_b64 v[15:16], 5, v[15:16]
	v_lshlrev_b64 v[17:18], 2, v[15:16]
	s_delay_alu instid0(VALU_DEP_1) | instskip(NEXT) | instid1(VALU_DEP_2)
	v_add_co_u32 v17, vcc_lo, s10, v17
	v_add_co_ci_u32_e32 v18, vcc_lo, s11, v18, vcc_lo
	global_load_b32 v0, v[17:18], off
	v_add_co_u32 v17, vcc_lo, v15, 1
	v_add_co_ci_u32_e32 v18, vcc_lo, 0, v16, vcc_lo
	s_waitcnt vmcnt(0)
	v_cmp_lt_i32_e32 vcc_lo, v0, v19
	s_delay_alu instid0(VALU_DEP_2) | instskip(SKIP_2) | instid1(SALU_CYCLE_1)
	v_dual_cndmask_b32 v7, v7, v17 :: v_dual_cndmask_b32 v8, v8, v18
	v_dual_cndmask_b32 v13, v15, v13 :: v_dual_cndmask_b32 v14, v16, v14
	s_or_b32 exec_lo, exec_lo, s0
	s_mov_b32 s0, exec_lo
	s_delay_alu instid0(VALU_DEP_1)
	v_cmpx_lt_i64_e64 v[7:8], v[13:14]
	s_cbranch_execz .LBB24_48
.LBB24_52:
	v_mad_u64_u32 v[15:16], null, v13, 15, v[7:8]
	s_delay_alu instid0(VALU_DEP_1) | instskip(NEXT) | instid1(VALU_DEP_1)
	v_mov_b32_e32 v0, v16
	v_mad_u64_u32 v[16:17], null, v14, 15, v[0:1]
	s_delay_alu instid0(VALU_DEP_1) | instskip(NEXT) | instid1(VALU_DEP_1)
	v_lshrrev_b64 v[15:16], 4, v[15:16]
	v_lshlrev_b64 v[17:18], 2, v[15:16]
	s_delay_alu instid0(VALU_DEP_1) | instskip(NEXT) | instid1(VALU_DEP_2)
	v_add_co_u32 v17, vcc_lo, s10, v17
	v_add_co_ci_u32_e32 v18, vcc_lo, s11, v18, vcc_lo
	global_load_b32 v0, v[17:18], off
	v_add_co_u32 v17, vcc_lo, v15, 1
	v_add_co_ci_u32_e32 v18, vcc_lo, 0, v16, vcc_lo
	s_waitcnt vmcnt(0)
	v_cmp_lt_i32_e32 vcc_lo, v0, v19
	s_delay_alu instid0(VALU_DEP_2) | instskip(SKIP_2) | instid1(SALU_CYCLE_1)
	v_dual_cndmask_b32 v7, v7, v17 :: v_dual_cndmask_b32 v8, v8, v18
	v_dual_cndmask_b32 v13, v15, v13 :: v_dual_cndmask_b32 v14, v16, v14
	s_or_b32 exec_lo, exec_lo, s0
	s_mov_b32 s0, exec_lo
	s_delay_alu instid0(VALU_DEP_1)
	v_cmpx_lt_i64_e64 v[7:8], v[13:14]
	s_cbranch_execz .LBB24_56
.LBB24_53:
	s_mov_b32 s4, 0
	.p2align	6
.LBB24_54:                              ; =>This Inner Loop Header: Depth=1
	v_add_co_u32 v15, vcc_lo, v7, v13
	v_add_co_ci_u32_e32 v16, vcc_lo, v8, v14, vcc_lo
	s_delay_alu instid0(VALU_DEP_1) | instskip(NEXT) | instid1(VALU_DEP_1)
	v_ashrrev_i64 v[15:16], 1, v[15:16]
	v_lshlrev_b64 v[17:18], 2, v[15:16]
	s_delay_alu instid0(VALU_DEP_1) | instskip(NEXT) | instid1(VALU_DEP_2)
	v_add_co_u32 v17, vcc_lo, s10, v17
	v_add_co_ci_u32_e32 v18, vcc_lo, s11, v18, vcc_lo
	global_load_b32 v0, v[17:18], off
	v_add_co_u32 v17, vcc_lo, v15, 1
	v_add_co_ci_u32_e32 v18, vcc_lo, 0, v16, vcc_lo
	s_waitcnt vmcnt(0)
	v_cmp_lt_i32_e32 vcc_lo, v0, v19
	s_delay_alu instid0(VALU_DEP_2) | instskip(SKIP_1) | instid1(VALU_DEP_1)
	v_dual_cndmask_b32 v8, v8, v18 :: v_dual_cndmask_b32 v7, v7, v17
	v_dual_cndmask_b32 v14, v16, v14 :: v_dual_cndmask_b32 v13, v15, v13
	v_cmp_ge_i64_e32 vcc_lo, v[7:8], v[13:14]
	s_or_b32 s4, vcc_lo, s4
	s_delay_alu instid0(SALU_CYCLE_1)
	s_and_not1_b32 exec_lo, exec_lo, s4
	s_cbranch_execnz .LBB24_54
; %bb.55:
	s_or_b32 exec_lo, exec_lo, s4
.LBB24_56:
	s_delay_alu instid0(SALU_CYCLE_1)
	s_or_b32 exec_lo, exec_lo, s0
	v_dual_mov_b32 v13, 0 :: v_dual_mov_b32 v16, v12
	v_dual_mov_b32 v14, 0 :: v_dual_mov_b32 v15, v11
	s_mov_b32 s0, exec_lo
	v_cmpx_lt_i64_e32 0, v[11:12]
	s_cbranch_execnz .LBB24_61
; %bb.57:
	s_or_b32 exec_lo, exec_lo, s0
	s_delay_alu instid0(SALU_CYCLE_1)
	s_mov_b32 s0, exec_lo
	v_cmpx_lt_i64_e64 v[13:14], v[15:16]
	s_cbranch_execnz .LBB24_62
.LBB24_58:
	s_or_b32 exec_lo, exec_lo, s0
	s_delay_alu instid0(SALU_CYCLE_1)
	s_mov_b32 s0, exec_lo
	v_cmpx_lt_i64_e64 v[13:14], v[15:16]
	s_cbranch_execnz .LBB24_63
.LBB24_59:
	s_or_b32 exec_lo, exec_lo, s0
	s_delay_alu instid0(SALU_CYCLE_1)
	s_mov_b32 s0, exec_lo
	v_cmpx_lt_i64_e64 v[13:14], v[15:16]
	s_cbranch_execnz .LBB24_64
.LBB24_60:
	s_or_b32 exec_lo, exec_lo, s0
	s_delay_alu instid0(SALU_CYCLE_1)
	s_mov_b32 s0, exec_lo
	v_cmpx_lt_i64_e64 v[13:14], v[15:16]
	s_cbranch_execnz .LBB24_65
	s_branch .LBB24_68
.LBB24_61:
	v_mad_u64_u32 v[13:14], null, 0x1ff, v11, 0
	s_delay_alu instid0(VALU_DEP_1) | instskip(NEXT) | instid1(VALU_DEP_1)
	v_mov_b32_e32 v0, v14
	v_mad_u64_u32 v[14:15], null, 0x1ff, v12, v[0:1]
	s_delay_alu instid0(VALU_DEP_1) | instskip(NEXT) | instid1(VALU_DEP_1)
	v_lshrrev_b64 v[15:16], 9, v[13:14]
	v_lshlrev_b64 v[13:14], 2, v[15:16]
	s_delay_alu instid0(VALU_DEP_1) | instskip(NEXT) | instid1(VALU_DEP_2)
	v_add_co_u32 v13, vcc_lo, s2, v13
	v_add_co_ci_u32_e32 v14, vcc_lo, s3, v14, vcc_lo
	global_load_b32 v0, v[13:14], off
	v_add_co_u32 v13, vcc_lo, v15, 1
	v_add_co_ci_u32_e32 v14, vcc_lo, 0, v16, vcc_lo
	s_waitcnt vmcnt(0)
	v_cmp_lt_i32_e32 vcc_lo, v0, v19
	s_delay_alu instid0(VALU_DEP_2) | instskip(SKIP_2) | instid1(SALU_CYCLE_1)
	v_dual_cndmask_b32 v13, 0, v13 :: v_dual_cndmask_b32 v14, 0, v14
	v_dual_cndmask_b32 v15, v15, v11 :: v_dual_cndmask_b32 v16, v16, v12
	s_or_b32 exec_lo, exec_lo, s0
	s_mov_b32 s0, exec_lo
	s_delay_alu instid0(VALU_DEP_1)
	v_cmpx_lt_i64_e64 v[13:14], v[15:16]
	s_cbranch_execz .LBB24_58
.LBB24_62:
	v_mad_u64_u32 v[17:18], null, 0x7f, v15, v[13:14]
	s_delay_alu instid0(VALU_DEP_1) | instskip(NEXT) | instid1(VALU_DEP_1)
	v_mov_b32_e32 v0, v18
	v_mad_u64_u32 v[20:21], null, 0x7f, v16, v[0:1]
	s_delay_alu instid0(VALU_DEP_1) | instskip(NEXT) | instid1(VALU_DEP_1)
	v_mov_b32_e32 v18, v20
	v_lshrrev_b64 v[17:18], 7, v[17:18]
	s_delay_alu instid0(VALU_DEP_1) | instskip(NEXT) | instid1(VALU_DEP_1)
	v_lshlrev_b64 v[20:21], 2, v[17:18]
	v_add_co_u32 v20, vcc_lo, s2, v20
	s_delay_alu instid0(VALU_DEP_2)
	v_add_co_ci_u32_e32 v21, vcc_lo, s3, v21, vcc_lo
	global_load_b32 v0, v[20:21], off
	v_add_co_u32 v20, vcc_lo, v17, 1
	v_add_co_ci_u32_e32 v21, vcc_lo, 0, v18, vcc_lo
	s_waitcnt vmcnt(0)
	v_cmp_lt_i32_e32 vcc_lo, v0, v19
	s_delay_alu instid0(VALU_DEP_2) | instskip(SKIP_3) | instid1(SALU_CYCLE_1)
	v_dual_cndmask_b32 v15, v17, v15 :: v_dual_cndmask_b32 v14, v14, v21
	v_cndmask_b32_e32 v13, v13, v20, vcc_lo
	v_cndmask_b32_e32 v16, v18, v16, vcc_lo
	s_or_b32 exec_lo, exec_lo, s0
	s_mov_b32 s0, exec_lo
	s_delay_alu instid0(VALU_DEP_1)
	v_cmpx_lt_i64_e64 v[13:14], v[15:16]
	s_cbranch_execz .LBB24_59
.LBB24_63:
	v_mad_u64_u32 v[17:18], null, v15, 31, v[13:14]
	s_delay_alu instid0(VALU_DEP_1) | instskip(NEXT) | instid1(VALU_DEP_1)
	v_mov_b32_e32 v0, v18
	v_mad_u64_u32 v[20:21], null, v16, 31, v[0:1]
	s_delay_alu instid0(VALU_DEP_1) | instskip(NEXT) | instid1(VALU_DEP_1)
	v_mov_b32_e32 v18, v20
	v_lshrrev_b64 v[17:18], 5, v[17:18]
	s_delay_alu instid0(VALU_DEP_1) | instskip(NEXT) | instid1(VALU_DEP_1)
	v_lshlrev_b64 v[20:21], 2, v[17:18]
	v_add_co_u32 v20, vcc_lo, s2, v20
	s_delay_alu instid0(VALU_DEP_2)
	v_add_co_ci_u32_e32 v21, vcc_lo, s3, v21, vcc_lo
	global_load_b32 v0, v[20:21], off
	v_add_co_u32 v20, vcc_lo, v17, 1
	v_add_co_ci_u32_e32 v21, vcc_lo, 0, v18, vcc_lo
	s_waitcnt vmcnt(0)
	v_cmp_lt_i32_e32 vcc_lo, v0, v19
	s_delay_alu instid0(VALU_DEP_2) | instskip(SKIP_3) | instid1(SALU_CYCLE_1)
	v_dual_cndmask_b32 v15, v17, v15 :: v_dual_cndmask_b32 v14, v14, v21
	v_cndmask_b32_e32 v13, v13, v20, vcc_lo
	v_cndmask_b32_e32 v16, v18, v16, vcc_lo
	s_or_b32 exec_lo, exec_lo, s0
	s_mov_b32 s0, exec_lo
	s_delay_alu instid0(VALU_DEP_1)
	v_cmpx_lt_i64_e64 v[13:14], v[15:16]
	s_cbranch_execz .LBB24_60
.LBB24_64:
	v_mad_u64_u32 v[17:18], null, v15, 15, v[13:14]
	s_delay_alu instid0(VALU_DEP_1) | instskip(NEXT) | instid1(VALU_DEP_1)
	v_mov_b32_e32 v0, v18
	v_mad_u64_u32 v[20:21], null, v16, 15, v[0:1]
	s_delay_alu instid0(VALU_DEP_1) | instskip(NEXT) | instid1(VALU_DEP_1)
	v_mov_b32_e32 v18, v20
	v_lshrrev_b64 v[17:18], 4, v[17:18]
	s_delay_alu instid0(VALU_DEP_1) | instskip(NEXT) | instid1(VALU_DEP_1)
	v_lshlrev_b64 v[20:21], 2, v[17:18]
	v_add_co_u32 v20, vcc_lo, s2, v20
	s_delay_alu instid0(VALU_DEP_2)
	v_add_co_ci_u32_e32 v21, vcc_lo, s3, v21, vcc_lo
	global_load_b32 v0, v[20:21], off
	v_add_co_u32 v20, vcc_lo, v17, 1
	v_add_co_ci_u32_e32 v21, vcc_lo, 0, v18, vcc_lo
	s_waitcnt vmcnt(0)
	v_cmp_lt_i32_e32 vcc_lo, v0, v19
	s_delay_alu instid0(VALU_DEP_2) | instskip(SKIP_3) | instid1(SALU_CYCLE_1)
	v_dual_cndmask_b32 v15, v17, v15 :: v_dual_cndmask_b32 v14, v14, v21
	v_cndmask_b32_e32 v13, v13, v20, vcc_lo
	v_cndmask_b32_e32 v16, v18, v16, vcc_lo
	s_or_b32 exec_lo, exec_lo, s0
	s_mov_b32 s0, exec_lo
	s_delay_alu instid0(VALU_DEP_1)
	v_cmpx_lt_i64_e64 v[13:14], v[15:16]
	s_cbranch_execz .LBB24_68
.LBB24_65:
	s_mov_b32 s4, 0
	.p2align	6
.LBB24_66:                              ; =>This Inner Loop Header: Depth=1
	v_add_co_u32 v17, vcc_lo, v13, v15
	v_add_co_ci_u32_e32 v18, vcc_lo, v14, v16, vcc_lo
	s_delay_alu instid0(VALU_DEP_1) | instskip(NEXT) | instid1(VALU_DEP_1)
	v_ashrrev_i64 v[17:18], 1, v[17:18]
	v_lshlrev_b64 v[20:21], 2, v[17:18]
	s_delay_alu instid0(VALU_DEP_1) | instskip(NEXT) | instid1(VALU_DEP_2)
	v_add_co_u32 v20, vcc_lo, s2, v20
	v_add_co_ci_u32_e32 v21, vcc_lo, s3, v21, vcc_lo
	global_load_b32 v0, v[20:21], off
	v_add_co_u32 v20, vcc_lo, v17, 1
	v_add_co_ci_u32_e32 v21, vcc_lo, 0, v18, vcc_lo
	s_waitcnt vmcnt(0)
	v_cmp_lt_i32_e32 vcc_lo, v0, v19
	s_delay_alu instid0(VALU_DEP_2) | instskip(SKIP_1) | instid1(VALU_DEP_1)
	v_dual_cndmask_b32 v14, v14, v21 :: v_dual_cndmask_b32 v13, v13, v20
	v_dual_cndmask_b32 v16, v18, v16 :: v_dual_cndmask_b32 v15, v17, v15
	v_cmp_ge_i64_e32 vcc_lo, v[13:14], v[15:16]
	s_or_b32 s4, vcc_lo, s4
	s_delay_alu instid0(SALU_CYCLE_1)
	s_and_not1_b32 exec_lo, exec_lo, s4
	s_cbranch_execnz .LBB24_66
; %bb.67:
	s_or_b32 exec_lo, exec_lo, s4
.LBB24_68:
	s_delay_alu instid0(SALU_CYCLE_1)
	s_or_b32 exec_lo, exec_lo, s0
	v_sub_co_u32 v0, vcc_lo, v1, v7
	v_sub_co_ci_u32_e32 v1, vcc_lo, v2, v8, vcc_lo
	v_sub_co_u32 v17, vcc_lo, v11, v13
	v_sub_co_ci_u32_e32 v18, vcc_lo, v12, v14, vcc_lo
	s_mov_b32 s0, exec_lo
	s_delay_alu instid0(VALU_DEP_2) | instskip(NEXT) | instid1(VALU_DEP_2)
	v_add_co_u32 v15, vcc_lo, v17, v0
	v_add_co_ci_u32_e32 v16, vcc_lo, v18, v1, vcc_lo
	s_delay_alu instid0(VALU_DEP_1) | instskip(NEXT) | instid1(VALU_DEP_1)
	v_ashrrev_i64 v[0:1], 1, v[15:16]
	v_cmp_gt_i64_e32 vcc_lo, v[0:1], v[17:18]
	v_dual_cndmask_b32 v1, v18, v1 :: v_dual_cndmask_b32 v0, v17, v0
	s_delay_alu instid0(VALU_DEP_1) | instskip(NEXT) | instid1(VALU_DEP_2)
	v_add_co_u32 v2, vcc_lo, v13, v0
	v_add_co_ci_u32_e32 v14, vcc_lo, v14, v1, vcc_lo
	s_delay_alu instid0(VALU_DEP_2) | instskip(NEXT) | instid1(VALU_DEP_2)
	v_add_co_u32 v13, vcc_lo, v2, 1
	v_add_co_ci_u32_e32 v14, vcc_lo, 0, v14, vcc_lo
	s_delay_alu instid0(VALU_DEP_1) | instskip(SKIP_2) | instid1(VALU_DEP_2)
	v_cmp_gt_i64_e32 vcc_lo, s[6:7], v[13:14]
	v_cndmask_b32_e32 v13, s6, v13, vcc_lo
	v_cndmask_b32_e32 v2, s7, v14, vcc_lo
	v_sub_co_u32 v13, vcc_lo, v13, v11
	s_delay_alu instid0(VALU_DEP_2) | instskip(SKIP_2) | instid1(VALU_DEP_3)
	v_sub_co_ci_u32_e32 v14, vcc_lo, v2, v12, vcc_lo
	v_mov_b32_e32 v11, 0
	v_mov_b32_e32 v12, 0
	v_cmpx_lt_i64_e32 0, v[13:14]
	s_cbranch_execz .LBB24_72
; %bb.69:
	v_mov_b32_e32 v11, 0
	v_mov_b32_e32 v12, 0
	s_mov_b32 s2, 0
	.p2align	6
.LBB24_70:                              ; =>This Inner Loop Header: Depth=1
	s_delay_alu instid0(VALU_DEP_2) | instskip(NEXT) | instid1(VALU_DEP_2)
	v_add_co_u32 v20, vcc_lo, v11, v13
	v_add_co_ci_u32_e32 v21, vcc_lo, v12, v14, vcc_lo
	s_delay_alu instid0(VALU_DEP_1) | instskip(NEXT) | instid1(VALU_DEP_1)
	v_ashrrev_i64 v[20:21], 1, v[20:21]
	v_lshlrev_b64 v[22:23], 2, v[20:21]
	s_delay_alu instid0(VALU_DEP_1) | instskip(NEXT) | instid1(VALU_DEP_2)
	v_add_co_u32 v22, vcc_lo, v9, v22
	v_add_co_ci_u32_e32 v23, vcc_lo, v10, v23, vcc_lo
	global_load_b32 v2, v[22:23], off
	v_add_co_u32 v22, vcc_lo, v20, 1
	v_add_co_ci_u32_e32 v23, vcc_lo, 0, v21, vcc_lo
	s_waitcnt vmcnt(0)
	v_cmp_gt_i32_e32 vcc_lo, v2, v19
	s_delay_alu instid0(VALU_DEP_2) | instskip(SKIP_1) | instid1(VALU_DEP_1)
	v_dual_cndmask_b32 v12, v23, v12 :: v_dual_cndmask_b32 v11, v22, v11
	v_dual_cndmask_b32 v14, v14, v21 :: v_dual_cndmask_b32 v13, v13, v20
	v_cmp_ge_i64_e32 vcc_lo, v[11:12], v[13:14]
	s_or_b32 s2, vcc_lo, s2
	s_delay_alu instid0(SALU_CYCLE_1)
	s_and_not1_b32 exec_lo, exec_lo, s2
	s_cbranch_execnz .LBB24_70
; %bb.71:
	s_or_b32 exec_lo, exec_lo, s2
	v_ashrrev_i32_e32 v12, 31, v11
.LBB24_72:
	s_or_b32 exec_lo, exec_lo, s0
	v_add_co_u32 v9, vcc_lo, v11, v17
	s_delay_alu instid0(VALU_DEP_2) | instskip(SKIP_1) | instid1(VALU_DEP_1)
	v_add_co_ci_u32_e32 v10, vcc_lo, v12, v18, vcc_lo
	s_mov_b32 s2, 0
	v_cmp_lt_i64_e32 vcc_lo, v[9:10], v[0:1]
	v_dual_cndmask_b32 v2, v1, v10 :: v_dual_cndmask_b32 v13, v0, v9
	s_delay_alu instid0(VALU_DEP_1) | instskip(NEXT) | instid1(VALU_DEP_2)
	v_sub_co_u32 v11, vcc_lo, v15, v13
	v_sub_co_ci_u32_e32 v12, vcc_lo, v16, v2, vcc_lo
	v_add_co_u32 v13, vcc_lo, v13, 1
	v_add_co_ci_u32_e32 v14, vcc_lo, 0, v2, vcc_lo
	v_cmp_lt_i64_e32 vcc_lo, v[0:1], v[9:10]
	v_mov_b32_e32 v10, s2
	s_delay_alu instid0(VALU_DEP_3) | instskip(NEXT) | instid1(VALU_DEP_1)
	v_cmp_eq_u64_e64 s0, v[11:12], v[13:14]
	s_and_b32 s0, s0, vcc_lo
	v_add_co_u32 v1, vcc_lo, v11, v7
	v_cndmask_b32_e64 v9, 0, 1, s0
	v_add_co_ci_u32_e32 v2, vcc_lo, v12, v8, vcc_lo
.LBB24_73:
	s_or_b32 exec_lo, exec_lo, s1
	s_delay_alu instid0(VALU_DEP_2) | instskip(SKIP_2) | instid1(VALU_DEP_2)
	v_add_co_u32 v0, vcc_lo, v9, v3
	v_add_co_ci_u32_e32 v4, vcc_lo, v10, v4, vcc_lo
	s_mov_b32 s0, -1
	v_sub_co_u32 v3, vcc_lo, v0, v1
	s_delay_alu instid0(VALU_DEP_2)
	v_sub_co_ci_u32_e32 v4, vcc_lo, v4, v2, vcc_lo
.LBB24_74:
	s_and_saveexec_b32 s1, s0
	s_cbranch_execnz .LBB24_76
; %bb.75:
	s_endpgm
.LBB24_76:
	v_lshlrev_b64 v[5:6], 4, v[5:6]
	s_delay_alu instid0(VALU_DEP_1) | instskip(NEXT) | instid1(VALU_DEP_2)
	v_add_co_u32 v5, vcc_lo, s8, v5
	v_add_co_ci_u32_e32 v6, vcc_lo, s9, v6, vcc_lo
	global_store_b128 v[5:6], v[1:4], off
	s_nop 0
	s_sendmsg sendmsg(MSG_DEALLOC_VGPRS)
	s_endpgm
	.section	.rodata,"a",@progbits
	.p2align	6, 0x0
	.amdhsa_kernel _ZN6thrust23THRUST_200600_302600_NS11hip_rocprim14__parallel_for6kernelILj256EZNS1_16__set_operations9doit_stepILb0ENS0_6detail15normal_iteratorINS0_10device_ptrIKiEEEESB_PiSC_lNS7_INS8_IiEEEESC_NS0_4lessIiEENS4_21serial_set_differenceEEE10hipError_tPvRmT0_T1_T2_T3_T4_SP_T5_T6_PSP_T7_T8_P12ihipStream_tbEUllE_jLj1EEEvSL_SM_SM_
		.amdhsa_group_segment_fixed_size 0
		.amdhsa_private_segment_fixed_size 0
		.amdhsa_kernarg_size 56
		.amdhsa_user_sgpr_count 15
		.amdhsa_user_sgpr_dispatch_ptr 0
		.amdhsa_user_sgpr_queue_ptr 0
		.amdhsa_user_sgpr_kernarg_segment_ptr 1
		.amdhsa_user_sgpr_dispatch_id 0
		.amdhsa_user_sgpr_private_segment_size 0
		.amdhsa_wavefront_size32 1
		.amdhsa_uses_dynamic_stack 0
		.amdhsa_enable_private_segment 0
		.amdhsa_system_sgpr_workgroup_id_x 1
		.amdhsa_system_sgpr_workgroup_id_y 0
		.amdhsa_system_sgpr_workgroup_id_z 0
		.amdhsa_system_sgpr_workgroup_info 0
		.amdhsa_system_vgpr_workitem_id 0
		.amdhsa_next_free_vgpr 25
		.amdhsa_next_free_sgpr 16
		.amdhsa_reserve_vcc 1
		.amdhsa_float_round_mode_32 0
		.amdhsa_float_round_mode_16_64 0
		.amdhsa_float_denorm_mode_32 3
		.amdhsa_float_denorm_mode_16_64 3
		.amdhsa_dx10_clamp 1
		.amdhsa_ieee_mode 1
		.amdhsa_fp16_overflow 0
		.amdhsa_workgroup_processor_mode 1
		.amdhsa_memory_ordered 1
		.amdhsa_forward_progress 0
		.amdhsa_shared_vgpr_count 0
		.amdhsa_exception_fp_ieee_invalid_op 0
		.amdhsa_exception_fp_denorm_src 0
		.amdhsa_exception_fp_ieee_div_zero 0
		.amdhsa_exception_fp_ieee_overflow 0
		.amdhsa_exception_fp_ieee_underflow 0
		.amdhsa_exception_fp_ieee_inexact 0
		.amdhsa_exception_int_div_zero 0
	.end_amdhsa_kernel
	.section	.text._ZN6thrust23THRUST_200600_302600_NS11hip_rocprim14__parallel_for6kernelILj256EZNS1_16__set_operations9doit_stepILb0ENS0_6detail15normal_iteratorINS0_10device_ptrIKiEEEESB_PiSC_lNS7_INS8_IiEEEESC_NS0_4lessIiEENS4_21serial_set_differenceEEE10hipError_tPvRmT0_T1_T2_T3_T4_SP_T5_T6_PSP_T7_T8_P12ihipStream_tbEUllE_jLj1EEEvSL_SM_SM_,"axG",@progbits,_ZN6thrust23THRUST_200600_302600_NS11hip_rocprim14__parallel_for6kernelILj256EZNS1_16__set_operations9doit_stepILb0ENS0_6detail15normal_iteratorINS0_10device_ptrIKiEEEESB_PiSC_lNS7_INS8_IiEEEESC_NS0_4lessIiEENS4_21serial_set_differenceEEE10hipError_tPvRmT0_T1_T2_T3_T4_SP_T5_T6_PSP_T7_T8_P12ihipStream_tbEUllE_jLj1EEEvSL_SM_SM_,comdat
.Lfunc_end24:
	.size	_ZN6thrust23THRUST_200600_302600_NS11hip_rocprim14__parallel_for6kernelILj256EZNS1_16__set_operations9doit_stepILb0ENS0_6detail15normal_iteratorINS0_10device_ptrIKiEEEESB_PiSC_lNS7_INS8_IiEEEESC_NS0_4lessIiEENS4_21serial_set_differenceEEE10hipError_tPvRmT0_T1_T2_T3_T4_SP_T5_T6_PSP_T7_T8_P12ihipStream_tbEUllE_jLj1EEEvSL_SM_SM_, .Lfunc_end24-_ZN6thrust23THRUST_200600_302600_NS11hip_rocprim14__parallel_for6kernelILj256EZNS1_16__set_operations9doit_stepILb0ENS0_6detail15normal_iteratorINS0_10device_ptrIKiEEEESB_PiSC_lNS7_INS8_IiEEEESC_NS0_4lessIiEENS4_21serial_set_differenceEEE10hipError_tPvRmT0_T1_T2_T3_T4_SP_T5_T6_PSP_T7_T8_P12ihipStream_tbEUllE_jLj1EEEvSL_SM_SM_
                                        ; -- End function
	.section	.AMDGPU.csdata,"",@progbits
; Kernel info:
; codeLenInByte = 5124
; NumSgprs: 18
; NumVgprs: 25
; ScratchSize: 0
; MemoryBound: 0
; FloatMode: 240
; IeeeMode: 1
; LDSByteSize: 0 bytes/workgroup (compile time only)
; SGPRBlocks: 2
; VGPRBlocks: 3
; NumSGPRsForWavesPerEU: 18
; NumVGPRsForWavesPerEU: 25
; Occupancy: 16
; WaveLimiterHint : 0
; COMPUTE_PGM_RSRC2:SCRATCH_EN: 0
; COMPUTE_PGM_RSRC2:USER_SGPR: 15
; COMPUTE_PGM_RSRC2:TRAP_HANDLER: 0
; COMPUTE_PGM_RSRC2:TGID_X_EN: 1
; COMPUTE_PGM_RSRC2:TGID_Y_EN: 0
; COMPUTE_PGM_RSRC2:TGID_Z_EN: 0
; COMPUTE_PGM_RSRC2:TIDIG_COMP_CNT: 0
	.section	.text._ZN6thrust23THRUST_200600_302600_NS11hip_rocprim16__set_operations22lookback_set_op_kernelIN7rocprim17ROCPRIM_400000_NS13kernel_configILj256ELj16ELj4294967295EEELb0ENS0_6detail15normal_iteratorINS0_10device_ptrIKiEEEESD_PiSE_lNS9_INSA_IiEEEESE_NS0_4lessIiEENS2_21serial_set_differenceENS5_6detail19lookback_scan_stateIlLb0ELb1EEEEEvT1_T2_T3_T4_T6_T7_T8_T9_PNS0_4pairIT5_SW_EEPSW_T10_NSK_16ordered_block_idIjEE,"axG",@progbits,_ZN6thrust23THRUST_200600_302600_NS11hip_rocprim16__set_operations22lookback_set_op_kernelIN7rocprim17ROCPRIM_400000_NS13kernel_configILj256ELj16ELj4294967295EEELb0ENS0_6detail15normal_iteratorINS0_10device_ptrIKiEEEESD_PiSE_lNS9_INSA_IiEEEESE_NS0_4lessIiEENS2_21serial_set_differenceENS5_6detail19lookback_scan_stateIlLb0ELb1EEEEEvT1_T2_T3_T4_T6_T7_T8_T9_PNS0_4pairIT5_SW_EEPSW_T10_NSK_16ordered_block_idIjEE,comdat
	.protected	_ZN6thrust23THRUST_200600_302600_NS11hip_rocprim16__set_operations22lookback_set_op_kernelIN7rocprim17ROCPRIM_400000_NS13kernel_configILj256ELj16ELj4294967295EEELb0ENS0_6detail15normal_iteratorINS0_10device_ptrIKiEEEESD_PiSE_lNS9_INSA_IiEEEESE_NS0_4lessIiEENS2_21serial_set_differenceENS5_6detail19lookback_scan_stateIlLb0ELb1EEEEEvT1_T2_T3_T4_T6_T7_T8_T9_PNS0_4pairIT5_SW_EEPSW_T10_NSK_16ordered_block_idIjEE ; -- Begin function _ZN6thrust23THRUST_200600_302600_NS11hip_rocprim16__set_operations22lookback_set_op_kernelIN7rocprim17ROCPRIM_400000_NS13kernel_configILj256ELj16ELj4294967295EEELb0ENS0_6detail15normal_iteratorINS0_10device_ptrIKiEEEESD_PiSE_lNS9_INSA_IiEEEESE_NS0_4lessIiEENS2_21serial_set_differenceENS5_6detail19lookback_scan_stateIlLb0ELb1EEEEEvT1_T2_T3_T4_T6_T7_T8_T9_PNS0_4pairIT5_SW_EEPSW_T10_NSK_16ordered_block_idIjEE
	.globl	_ZN6thrust23THRUST_200600_302600_NS11hip_rocprim16__set_operations22lookback_set_op_kernelIN7rocprim17ROCPRIM_400000_NS13kernel_configILj256ELj16ELj4294967295EEELb0ENS0_6detail15normal_iteratorINS0_10device_ptrIKiEEEESD_PiSE_lNS9_INSA_IiEEEESE_NS0_4lessIiEENS2_21serial_set_differenceENS5_6detail19lookback_scan_stateIlLb0ELb1EEEEEvT1_T2_T3_T4_T6_T7_T8_T9_PNS0_4pairIT5_SW_EEPSW_T10_NSK_16ordered_block_idIjEE
	.p2align	8
	.type	_ZN6thrust23THRUST_200600_302600_NS11hip_rocprim16__set_operations22lookback_set_op_kernelIN7rocprim17ROCPRIM_400000_NS13kernel_configILj256ELj16ELj4294967295EEELb0ENS0_6detail15normal_iteratorINS0_10device_ptrIKiEEEESD_PiSE_lNS9_INSA_IiEEEESE_NS0_4lessIiEENS2_21serial_set_differenceENS5_6detail19lookback_scan_stateIlLb0ELb1EEEEEvT1_T2_T3_T4_T6_T7_T8_T9_PNS0_4pairIT5_SW_EEPSW_T10_NSK_16ordered_block_idIjEE,@function
_ZN6thrust23THRUST_200600_302600_NS11hip_rocprim16__set_operations22lookback_set_op_kernelIN7rocprim17ROCPRIM_400000_NS13kernel_configILj256ELj16ELj4294967295EEELb0ENS0_6detail15normal_iteratorINS0_10device_ptrIKiEEEESD_PiSE_lNS9_INSA_IiEEEESE_NS0_4lessIiEENS2_21serial_set_differenceENS5_6detail19lookback_scan_stateIlLb0ELb1EEEEEvT1_T2_T3_T4_T6_T7_T8_T9_PNS0_4pairIT5_SW_EEPSW_T10_NSK_16ordered_block_idIjEE: ; @_ZN6thrust23THRUST_200600_302600_NS11hip_rocprim16__set_operations22lookback_set_op_kernelIN7rocprim17ROCPRIM_400000_NS13kernel_configILj256ELj16ELj4294967295EEELb0ENS0_6detail15normal_iteratorINS0_10device_ptrIKiEEEESD_PiSE_lNS9_INSA_IiEEEESE_NS0_4lessIiEENS2_21serial_set_differenceENS5_6detail19lookback_scan_stateIlLb0ELb1EEEEEvT1_T2_T3_T4_T6_T7_T8_T9_PNS0_4pairIT5_SW_EEPSW_T10_NSK_16ordered_block_idIjEE
; %bb.0:
	s_clause 0x2
	s_load_b32 s3, s[0:1], 0x64
	s_load_b32 s2, s[0:1], 0x58
	s_load_b256 s[16:23], s[0:1], 0x38
	v_bfe_u32 v1, v0, 10, 10
	v_bfe_u32 v2, v0, 20, 10
	v_and_b32_e32 v16, 0x3ff, v0
	s_waitcnt lgkmcnt(0)
	s_lshr_b32 s4, s3, 16
	s_and_b32 s3, s3, 0xffff
	v_mad_u32_u24 v1, v2, s4, v1
	s_delay_alu instid0(VALU_DEP_1) | instskip(SKIP_2) | instid1(VALU_DEP_1)
	v_mul_lo_u32 v0, v1, s3
	v_sub_nc_u32_e32 v1, 0, v16
	s_mov_b32 s3, exec_lo
	v_cmpx_eq_u32_e64 v0, v1
	s_cbranch_execz .LBB25_4
; %bb.1:
	s_mov_b32 s5, exec_lo
	s_mov_b32 s4, exec_lo
	v_mbcnt_lo_u32_b32 v0, s5, 0
                                        ; implicit-def: $vgpr1
	s_delay_alu instid0(VALU_DEP_1)
	v_cmpx_eq_u32_e32 0, v0
	s_cbranch_execz .LBB25_3
; %bb.2:
	s_bcnt1_i32_b32 s5, s5
	s_delay_alu instid0(SALU_CYCLE_1)
	v_dual_mov_b32 v1, 0 :: v_dual_mov_b32 v2, s5
	global_atomic_add_u32 v1, v1, v2, s[22:23] glc
.LBB25_3:
	s_or_b32 exec_lo, exec_lo, s4
	s_waitcnt vmcnt(0)
	v_readfirstlane_b32 s4, v1
	s_delay_alu instid0(VALU_DEP_1)
	v_dual_mov_b32 v1, 0 :: v_dual_add_nc_u32 v0, s4, v0
	ds_store_b32 v1, v0 offset:36864
.LBB25_4:
	s_or_b32 exec_lo, exec_lo, s3
	v_mov_b32_e32 v4, 0
	s_waitcnt lgkmcnt(0)
	s_barrier
	buffer_gl0_inv
	s_add_i32 s8, s2, -1
	ds_load_b32 v8, v4 offset:36864
	s_waitcnt lgkmcnt(0)
	v_readfirstlane_b32 s22, v8
	v_cmp_le_i32_e32 vcc_lo, s8, v8
	s_delay_alu instid0(VALU_DEP_2) | instskip(NEXT) | instid1(SALU_CYCLE_1)
	s_ashr_i32 s23, s22, 31
	s_lshl_b64 s[4:5], s[22:23], 4
	s_delay_alu instid0(SALU_CYCLE_1)
	s_add_u32 s2, s16, s4
	s_addc_u32 s3, s17, s5
	s_clause 0x1
	s_load_b128 s[4:7], s[0:1], 0x0
	s_load_b64 s[16:17], s[0:1], 0x20
	s_clause 0x1
	global_load_b128 v[0:3], v4, s[2:3]
	global_load_b128 v[4:7], v4, s[2:3] offset:16
	s_and_b32 vcc_lo, exec_lo, vcc_lo
	s_waitcnt vmcnt(1)
	v_readfirstlane_b32 s2, v0
	s_waitcnt vmcnt(0)
	v_sub_nc_u32_e32 v17, v6, v2
	v_lshlrev_b64 v[2:3], 2, v[2:3]
	v_readfirstlane_b32 s1, v4
	v_mov_b32_e32 v0, s2
	s_delay_alu instid0(VALU_DEP_2) | instskip(NEXT) | instid1(VALU_DEP_1)
	s_sub_i32 s15, s1, s2
	v_lshlrev_b64 v[0:1], 2, v[0:1]
	s_waitcnt lgkmcnt(0)
	s_delay_alu instid0(VALU_DEP_1) | instskip(NEXT) | instid1(VALU_DEP_1)
	v_add_co_u32 v20, s0, s4, v0
	v_add_co_ci_u32_e64 v21, s0, s5, v1, s0
	v_add_co_u32 v18, s0, s6, v2
	s_delay_alu instid0(VALU_DEP_1)
	v_add_co_ci_u32_e64 v19, s0, s7, v3, s0
	s_mov_b32 s0, -1
	s_cbranch_vccz .LBB25_250
; %bb.5:
	v_add_nc_u32_e32 v23, s15, v17
	s_mov_b32 s0, exec_lo
                                        ; implicit-def: $vgpr0_vgpr1_vgpr2_vgpr3_vgpr4_vgpr5_vgpr6_vgpr7_vgpr8_vgpr9_vgpr10_vgpr11_vgpr12_vgpr13_vgpr14_vgpr15
	s_delay_alu instid0(VALU_DEP_1)
	v_cmpx_lt_i32_e64 v16, v23
	s_cbranch_execz .LBB25_7
; %bb.6:
	v_subrev_nc_u32_e32 v0, s15, v16
	v_lshlrev_b32_e32 v2, 2, v16
	s_delay_alu instid0(VALU_DEP_2) | instskip(NEXT) | instid1(VALU_DEP_2)
	v_ashrrev_i32_e32 v1, 31, v0
	v_add_co_u32 v2, vcc_lo, v20, v2
	v_add_co_ci_u32_e32 v3, vcc_lo, 0, v21, vcc_lo
	s_delay_alu instid0(VALU_DEP_3) | instskip(NEXT) | instid1(VALU_DEP_1)
	v_lshlrev_b64 v[0:1], 2, v[0:1]
	v_add_co_u32 v0, vcc_lo, v18, v0
	s_delay_alu instid0(VALU_DEP_2) | instskip(SKIP_1) | instid1(VALU_DEP_2)
	v_add_co_ci_u32_e32 v1, vcc_lo, v19, v1, vcc_lo
	v_cmp_gt_i32_e32 vcc_lo, s15, v16
	v_dual_cndmask_b32 v1, v1, v3 :: v_dual_cndmask_b32 v0, v0, v2
	global_load_b32 v0, v[0:1], off
.LBB25_7:
	s_or_b32 exec_lo, exec_lo, s0
	v_add_nc_u32_e32 v22, 0x100, v16
	s_mov_b32 s0, exec_lo
	s_delay_alu instid0(VALU_DEP_1)
	v_cmpx_lt_i32_e64 v22, v23
	s_cbranch_execz .LBB25_9
; %bb.8:
	s_ashr_i32 s1, s15, 31
	v_sub_co_u32 v24, s2, v16, s15
	s_delay_alu instid0(VALU_DEP_1) | instskip(SKIP_1) | instid1(VALU_DEP_2)
	v_sub_co_ci_u32_e64 v25, null, 0, s1, s2
	v_lshlrev_b32_e32 v1, 2, v16
	v_lshlrev_b64 v[24:25], 2, v[24:25]
	s_delay_alu instid0(VALU_DEP_2) | instskip(SKIP_1) | instid1(VALU_DEP_3)
	v_add_co_u32 v1, vcc_lo, v20, v1
	v_add_co_ci_u32_e32 v26, vcc_lo, 0, v21, vcc_lo
	v_add_co_u32 v24, vcc_lo, v18, v24
	s_delay_alu instid0(VALU_DEP_4) | instskip(SKIP_1) | instid1(VALU_DEP_2)
	v_add_co_ci_u32_e32 v25, vcc_lo, v19, v25, vcc_lo
	v_cmp_gt_i32_e32 vcc_lo, s15, v22
	v_dual_cndmask_b32 v25, v25, v26 :: v_dual_cndmask_b32 v24, v24, v1
	global_load_b32 v1, v[24:25], off offset:1024
.LBB25_9:
	s_or_b32 exec_lo, exec_lo, s0
	v_add_nc_u32_e32 v22, 0x200, v16
	s_mov_b32 s0, exec_lo
	s_delay_alu instid0(VALU_DEP_1)
	v_cmpx_lt_i32_e64 v22, v23
	s_cbranch_execz .LBB25_11
; %bb.10:
	s_ashr_i32 s1, s15, 31
	v_sub_co_u32 v24, s2, v16, s15
	s_delay_alu instid0(VALU_DEP_1) | instskip(SKIP_1) | instid1(VALU_DEP_2)
	v_sub_co_ci_u32_e64 v25, null, 0, s1, s2
	v_lshlrev_b32_e32 v2, 2, v16
	v_lshlrev_b64 v[24:25], 2, v[24:25]
	s_delay_alu instid0(VALU_DEP_2) | instskip(SKIP_1) | instid1(VALU_DEP_3)
	v_add_co_u32 v2, vcc_lo, v20, v2
	v_add_co_ci_u32_e32 v26, vcc_lo, 0, v21, vcc_lo
	v_add_co_u32 v24, vcc_lo, v18, v24
	s_delay_alu instid0(VALU_DEP_4) | instskip(SKIP_1) | instid1(VALU_DEP_2)
	v_add_co_ci_u32_e32 v25, vcc_lo, v19, v25, vcc_lo
	v_cmp_gt_i32_e32 vcc_lo, s15, v22
	v_cndmask_b32_e32 v25, v25, v26, vcc_lo
	s_delay_alu instid0(VALU_DEP_4)
	v_cndmask_b32_e32 v24, v24, v2, vcc_lo
	global_load_b32 v2, v[24:25], off offset:2048
.LBB25_11:
	s_or_b32 exec_lo, exec_lo, s0
	v_add_nc_u32_e32 v22, 0x300, v16
	s_mov_b32 s0, exec_lo
	s_delay_alu instid0(VALU_DEP_1)
	v_cmpx_lt_i32_e64 v22, v23
	s_cbranch_execz .LBB25_13
; %bb.12:
	s_ashr_i32 s1, s15, 31
	v_sub_co_u32 v24, s2, v16, s15
	s_delay_alu instid0(VALU_DEP_1) | instskip(SKIP_1) | instid1(VALU_DEP_2)
	v_sub_co_ci_u32_e64 v25, null, 0, s1, s2
	v_lshlrev_b32_e32 v3, 2, v16
	v_lshlrev_b64 v[24:25], 2, v[24:25]
	s_delay_alu instid0(VALU_DEP_2) | instskip(SKIP_1) | instid1(VALU_DEP_3)
	v_add_co_u32 v3, vcc_lo, v20, v3
	v_add_co_ci_u32_e32 v26, vcc_lo, 0, v21, vcc_lo
	v_add_co_u32 v24, vcc_lo, v18, v24
	s_delay_alu instid0(VALU_DEP_4) | instskip(SKIP_1) | instid1(VALU_DEP_2)
	v_add_co_ci_u32_e32 v25, vcc_lo, v19, v25, vcc_lo
	v_cmp_gt_i32_e32 vcc_lo, s15, v22
	v_dual_cndmask_b32 v25, v25, v26 :: v_dual_cndmask_b32 v24, v24, v3
	global_load_b32 v3, v[24:25], off offset:3072
.LBB25_13:
	s_or_b32 exec_lo, exec_lo, s0
	v_or_b32_e32 v22, 0x400, v16
	s_mov_b32 s0, exec_lo
	s_delay_alu instid0(VALU_DEP_1)
	v_cmpx_lt_i32_e64 v22, v23
	s_cbranch_execz .LBB25_15
; %bb.14:
	v_subrev_nc_u32_e32 v24, s15, v22
	v_lshlrev_b32_e32 v4, 2, v22
	s_delay_alu instid0(VALU_DEP_2) | instskip(NEXT) | instid1(VALU_DEP_2)
	v_ashrrev_i32_e32 v25, 31, v24
	v_add_co_u32 v4, vcc_lo, v20, v4
	v_add_co_ci_u32_e32 v26, vcc_lo, 0, v21, vcc_lo
	s_delay_alu instid0(VALU_DEP_3) | instskip(NEXT) | instid1(VALU_DEP_1)
	v_lshlrev_b64 v[24:25], 2, v[24:25]
	v_add_co_u32 v24, vcc_lo, v18, v24
	s_delay_alu instid0(VALU_DEP_2) | instskip(SKIP_1) | instid1(VALU_DEP_2)
	v_add_co_ci_u32_e32 v25, vcc_lo, v19, v25, vcc_lo
	v_cmp_gt_i32_e32 vcc_lo, s15, v22
	v_dual_cndmask_b32 v25, v25, v26 :: v_dual_cndmask_b32 v24, v24, v4
	global_load_b32 v4, v[24:25], off
.LBB25_15:
	s_or_b32 exec_lo, exec_lo, s0
	v_add_nc_u32_e32 v22, 0x500, v16
	s_mov_b32 s0, exec_lo
	s_delay_alu instid0(VALU_DEP_1)
	v_cmpx_lt_i32_e64 v22, v23
	s_cbranch_execz .LBB25_17
; %bb.16:
	v_subrev_nc_u32_e32 v24, s15, v22
	v_lshlrev_b32_e32 v5, 2, v22
	s_delay_alu instid0(VALU_DEP_2) | instskip(NEXT) | instid1(VALU_DEP_2)
	v_ashrrev_i32_e32 v25, 31, v24
	v_add_co_u32 v5, vcc_lo, v20, v5
	v_add_co_ci_u32_e32 v26, vcc_lo, 0, v21, vcc_lo
	s_delay_alu instid0(VALU_DEP_3) | instskip(NEXT) | instid1(VALU_DEP_1)
	v_lshlrev_b64 v[24:25], 2, v[24:25]
	v_add_co_u32 v24, vcc_lo, v18, v24
	s_delay_alu instid0(VALU_DEP_2) | instskip(SKIP_1) | instid1(VALU_DEP_2)
	v_add_co_ci_u32_e32 v25, vcc_lo, v19, v25, vcc_lo
	v_cmp_gt_i32_e32 vcc_lo, s15, v22
	v_dual_cndmask_b32 v25, v25, v26 :: v_dual_cndmask_b32 v24, v24, v5
	global_load_b32 v5, v[24:25], off
.LBB25_17:
	s_or_b32 exec_lo, exec_lo, s0
	v_add_nc_u32_e32 v22, 0x600, v16
	s_mov_b32 s0, exec_lo
	s_delay_alu instid0(VALU_DEP_1)
	v_cmpx_lt_i32_e64 v22, v23
	s_cbranch_execz .LBB25_19
; %bb.18:
	v_subrev_nc_u32_e32 v24, s15, v22
	v_lshlrev_b32_e32 v6, 2, v22
	s_delay_alu instid0(VALU_DEP_2) | instskip(NEXT) | instid1(VALU_DEP_2)
	v_ashrrev_i32_e32 v25, 31, v24
	v_add_co_u32 v6, vcc_lo, v20, v6
	v_add_co_ci_u32_e32 v26, vcc_lo, 0, v21, vcc_lo
	s_delay_alu instid0(VALU_DEP_3) | instskip(NEXT) | instid1(VALU_DEP_1)
	v_lshlrev_b64 v[24:25], 2, v[24:25]
	v_add_co_u32 v24, vcc_lo, v18, v24
	s_delay_alu instid0(VALU_DEP_2) | instskip(SKIP_1) | instid1(VALU_DEP_2)
	v_add_co_ci_u32_e32 v25, vcc_lo, v19, v25, vcc_lo
	v_cmp_gt_i32_e32 vcc_lo, s15, v22
	v_cndmask_b32_e32 v25, v25, v26, vcc_lo
	s_delay_alu instid0(VALU_DEP_4)
	v_cndmask_b32_e32 v24, v24, v6, vcc_lo
	global_load_b32 v6, v[24:25], off
.LBB25_19:
	s_or_b32 exec_lo, exec_lo, s0
	v_add_nc_u32_e32 v22, 0x700, v16
	s_mov_b32 s0, exec_lo
	s_delay_alu instid0(VALU_DEP_1)
	v_cmpx_lt_i32_e64 v22, v23
	s_cbranch_execz .LBB25_21
; %bb.20:
	v_subrev_nc_u32_e32 v24, s15, v22
	v_lshlrev_b32_e32 v7, 2, v22
	s_delay_alu instid0(VALU_DEP_2) | instskip(NEXT) | instid1(VALU_DEP_2)
	v_ashrrev_i32_e32 v25, 31, v24
	v_add_co_u32 v7, vcc_lo, v20, v7
	v_add_co_ci_u32_e32 v26, vcc_lo, 0, v21, vcc_lo
	s_delay_alu instid0(VALU_DEP_3) | instskip(NEXT) | instid1(VALU_DEP_1)
	v_lshlrev_b64 v[24:25], 2, v[24:25]
	v_add_co_u32 v24, vcc_lo, v18, v24
	s_delay_alu instid0(VALU_DEP_2) | instskip(SKIP_1) | instid1(VALU_DEP_2)
	v_add_co_ci_u32_e32 v25, vcc_lo, v19, v25, vcc_lo
	v_cmp_gt_i32_e32 vcc_lo, s15, v22
	v_dual_cndmask_b32 v25, v25, v26 :: v_dual_cndmask_b32 v24, v24, v7
	global_load_b32 v7, v[24:25], off
.LBB25_21:
	s_or_b32 exec_lo, exec_lo, s0
	v_or_b32_e32 v22, 0x800, v16
	s_mov_b32 s0, exec_lo
	s_delay_alu instid0(VALU_DEP_1)
	v_cmpx_lt_i32_e64 v22, v23
	s_cbranch_execz .LBB25_23
; %bb.22:
	v_subrev_nc_u32_e32 v24, s15, v22
	v_lshlrev_b32_e32 v8, 2, v22
	s_delay_alu instid0(VALU_DEP_2) | instskip(NEXT) | instid1(VALU_DEP_2)
	v_ashrrev_i32_e32 v25, 31, v24
	v_add_co_u32 v8, vcc_lo, v20, v8
	v_add_co_ci_u32_e32 v26, vcc_lo, 0, v21, vcc_lo
	s_delay_alu instid0(VALU_DEP_3) | instskip(NEXT) | instid1(VALU_DEP_1)
	v_lshlrev_b64 v[24:25], 2, v[24:25]
	v_add_co_u32 v24, vcc_lo, v18, v24
	s_delay_alu instid0(VALU_DEP_2) | instskip(SKIP_1) | instid1(VALU_DEP_2)
	v_add_co_ci_u32_e32 v25, vcc_lo, v19, v25, vcc_lo
	v_cmp_gt_i32_e32 vcc_lo, s15, v22
	v_dual_cndmask_b32 v25, v25, v26 :: v_dual_cndmask_b32 v24, v24, v8
	global_load_b32 v8, v[24:25], off
.LBB25_23:
	s_or_b32 exec_lo, exec_lo, s0
	v_add_nc_u32_e32 v22, 0x900, v16
	s_mov_b32 s0, exec_lo
	s_delay_alu instid0(VALU_DEP_1)
	v_cmpx_lt_i32_e64 v22, v23
	s_cbranch_execz .LBB25_25
; %bb.24:
	v_subrev_nc_u32_e32 v24, s15, v22
	v_lshlrev_b32_e32 v9, 2, v22
	s_delay_alu instid0(VALU_DEP_2) | instskip(NEXT) | instid1(VALU_DEP_2)
	v_ashrrev_i32_e32 v25, 31, v24
	v_add_co_u32 v9, vcc_lo, v20, v9
	v_add_co_ci_u32_e32 v26, vcc_lo, 0, v21, vcc_lo
	s_delay_alu instid0(VALU_DEP_3) | instskip(NEXT) | instid1(VALU_DEP_1)
	v_lshlrev_b64 v[24:25], 2, v[24:25]
	v_add_co_u32 v24, vcc_lo, v18, v24
	s_delay_alu instid0(VALU_DEP_2) | instskip(SKIP_1) | instid1(VALU_DEP_2)
	v_add_co_ci_u32_e32 v25, vcc_lo, v19, v25, vcc_lo
	v_cmp_gt_i32_e32 vcc_lo, s15, v22
	v_dual_cndmask_b32 v25, v25, v26 :: v_dual_cndmask_b32 v24, v24, v9
	global_load_b32 v9, v[24:25], off
.LBB25_25:
	s_or_b32 exec_lo, exec_lo, s0
	v_add_nc_u32_e32 v22, 0xa00, v16
	s_mov_b32 s0, exec_lo
	s_delay_alu instid0(VALU_DEP_1)
	v_cmpx_lt_i32_e64 v22, v23
	s_cbranch_execz .LBB25_27
; %bb.26:
	v_subrev_nc_u32_e32 v24, s15, v22
	v_lshlrev_b32_e32 v10, 2, v22
	s_delay_alu instid0(VALU_DEP_2) | instskip(NEXT) | instid1(VALU_DEP_2)
	v_ashrrev_i32_e32 v25, 31, v24
	v_add_co_u32 v10, vcc_lo, v20, v10
	v_add_co_ci_u32_e32 v26, vcc_lo, 0, v21, vcc_lo
	s_delay_alu instid0(VALU_DEP_3) | instskip(NEXT) | instid1(VALU_DEP_1)
	v_lshlrev_b64 v[24:25], 2, v[24:25]
	v_add_co_u32 v24, vcc_lo, v18, v24
	s_delay_alu instid0(VALU_DEP_2) | instskip(SKIP_1) | instid1(VALU_DEP_2)
	v_add_co_ci_u32_e32 v25, vcc_lo, v19, v25, vcc_lo
	v_cmp_gt_i32_e32 vcc_lo, s15, v22
	v_cndmask_b32_e32 v25, v25, v26, vcc_lo
	s_delay_alu instid0(VALU_DEP_4)
	v_cndmask_b32_e32 v24, v24, v10, vcc_lo
	global_load_b32 v10, v[24:25], off
.LBB25_27:
	s_or_b32 exec_lo, exec_lo, s0
	v_add_nc_u32_e32 v22, 0xb00, v16
	s_mov_b32 s0, exec_lo
	s_delay_alu instid0(VALU_DEP_1)
	v_cmpx_lt_i32_e64 v22, v23
	s_cbranch_execz .LBB25_29
; %bb.28:
	v_subrev_nc_u32_e32 v24, s15, v22
	v_lshlrev_b32_e32 v11, 2, v22
	s_delay_alu instid0(VALU_DEP_2) | instskip(NEXT) | instid1(VALU_DEP_2)
	v_ashrrev_i32_e32 v25, 31, v24
	v_add_co_u32 v11, vcc_lo, v20, v11
	v_add_co_ci_u32_e32 v26, vcc_lo, 0, v21, vcc_lo
	s_delay_alu instid0(VALU_DEP_3) | instskip(NEXT) | instid1(VALU_DEP_1)
	v_lshlrev_b64 v[24:25], 2, v[24:25]
	v_add_co_u32 v24, vcc_lo, v18, v24
	s_delay_alu instid0(VALU_DEP_2) | instskip(SKIP_1) | instid1(VALU_DEP_2)
	v_add_co_ci_u32_e32 v25, vcc_lo, v19, v25, vcc_lo
	v_cmp_gt_i32_e32 vcc_lo, s15, v22
	v_dual_cndmask_b32 v25, v25, v26 :: v_dual_cndmask_b32 v24, v24, v11
	global_load_b32 v11, v[24:25], off
.LBB25_29:
	s_or_b32 exec_lo, exec_lo, s0
	v_or_b32_e32 v22, 0xc00, v16
	s_mov_b32 s0, exec_lo
	s_delay_alu instid0(VALU_DEP_1)
	v_cmpx_lt_i32_e64 v22, v23
	s_cbranch_execz .LBB25_31
; %bb.30:
	v_subrev_nc_u32_e32 v24, s15, v22
	v_lshlrev_b32_e32 v12, 2, v22
	s_delay_alu instid0(VALU_DEP_2) | instskip(NEXT) | instid1(VALU_DEP_2)
	v_ashrrev_i32_e32 v25, 31, v24
	v_add_co_u32 v12, vcc_lo, v20, v12
	v_add_co_ci_u32_e32 v26, vcc_lo, 0, v21, vcc_lo
	s_delay_alu instid0(VALU_DEP_3) | instskip(NEXT) | instid1(VALU_DEP_1)
	v_lshlrev_b64 v[24:25], 2, v[24:25]
	v_add_co_u32 v24, vcc_lo, v18, v24
	s_delay_alu instid0(VALU_DEP_2) | instskip(SKIP_1) | instid1(VALU_DEP_2)
	v_add_co_ci_u32_e32 v25, vcc_lo, v19, v25, vcc_lo
	v_cmp_gt_i32_e32 vcc_lo, s15, v22
	v_dual_cndmask_b32 v25, v25, v26 :: v_dual_cndmask_b32 v24, v24, v12
	global_load_b32 v12, v[24:25], off
.LBB25_31:
	s_or_b32 exec_lo, exec_lo, s0
	v_add_nc_u32_e32 v22, 0xd00, v16
	s_mov_b32 s0, exec_lo
	s_delay_alu instid0(VALU_DEP_1)
	v_cmpx_lt_i32_e64 v22, v23
	s_cbranch_execz .LBB25_33
; %bb.32:
	v_subrev_nc_u32_e32 v24, s15, v22
	v_lshlrev_b32_e32 v13, 2, v22
	s_delay_alu instid0(VALU_DEP_2) | instskip(NEXT) | instid1(VALU_DEP_2)
	v_ashrrev_i32_e32 v25, 31, v24
	v_add_co_u32 v13, vcc_lo, v20, v13
	v_add_co_ci_u32_e32 v26, vcc_lo, 0, v21, vcc_lo
	s_delay_alu instid0(VALU_DEP_3) | instskip(NEXT) | instid1(VALU_DEP_1)
	v_lshlrev_b64 v[24:25], 2, v[24:25]
	v_add_co_u32 v24, vcc_lo, v18, v24
	s_delay_alu instid0(VALU_DEP_2) | instskip(SKIP_1) | instid1(VALU_DEP_2)
	v_add_co_ci_u32_e32 v25, vcc_lo, v19, v25, vcc_lo
	v_cmp_gt_i32_e32 vcc_lo, s15, v22
	v_dual_cndmask_b32 v25, v25, v26 :: v_dual_cndmask_b32 v24, v24, v13
	global_load_b32 v13, v[24:25], off
.LBB25_33:
	s_or_b32 exec_lo, exec_lo, s0
	v_add_nc_u32_e32 v22, 0xe00, v16
	s_mov_b32 s0, exec_lo
	s_delay_alu instid0(VALU_DEP_1)
	v_cmpx_lt_i32_e64 v22, v23
	s_cbranch_execz .LBB25_35
; %bb.34:
	v_subrev_nc_u32_e32 v24, s15, v22
	v_lshlrev_b32_e32 v14, 2, v22
	s_delay_alu instid0(VALU_DEP_2) | instskip(NEXT) | instid1(VALU_DEP_2)
	v_ashrrev_i32_e32 v25, 31, v24
	v_add_co_u32 v14, vcc_lo, v20, v14
	v_add_co_ci_u32_e32 v26, vcc_lo, 0, v21, vcc_lo
	s_delay_alu instid0(VALU_DEP_3) | instskip(NEXT) | instid1(VALU_DEP_1)
	v_lshlrev_b64 v[24:25], 2, v[24:25]
	v_add_co_u32 v24, vcc_lo, v18, v24
	s_delay_alu instid0(VALU_DEP_2) | instskip(SKIP_1) | instid1(VALU_DEP_2)
	v_add_co_ci_u32_e32 v25, vcc_lo, v19, v25, vcc_lo
	v_cmp_gt_i32_e32 vcc_lo, s15, v22
	v_cndmask_b32_e32 v25, v25, v26, vcc_lo
	s_delay_alu instid0(VALU_DEP_4)
	v_cndmask_b32_e32 v24, v24, v14, vcc_lo
	global_load_b32 v14, v[24:25], off
.LBB25_35:
	s_or_b32 exec_lo, exec_lo, s0
	v_add_nc_u32_e32 v22, 0xf00, v16
	s_mov_b32 s0, exec_lo
	s_delay_alu instid0(VALU_DEP_1)
	v_cmpx_lt_i32_e64 v22, v23
	s_cbranch_execz .LBB25_37
; %bb.36:
	v_subrev_nc_u32_e32 v24, s15, v22
	v_lshlrev_b32_e32 v15, 2, v22
	s_delay_alu instid0(VALU_DEP_2) | instskip(NEXT) | instid1(VALU_DEP_2)
	v_ashrrev_i32_e32 v25, 31, v24
	v_add_co_u32 v15, vcc_lo, v20, v15
	v_add_co_ci_u32_e32 v26, vcc_lo, 0, v21, vcc_lo
	s_delay_alu instid0(VALU_DEP_3) | instskip(NEXT) | instid1(VALU_DEP_1)
	v_lshlrev_b64 v[24:25], 2, v[24:25]
	v_add_co_u32 v24, vcc_lo, v18, v24
	s_delay_alu instid0(VALU_DEP_2) | instskip(SKIP_1) | instid1(VALU_DEP_2)
	v_add_co_ci_u32_e32 v25, vcc_lo, v19, v25, vcc_lo
	v_cmp_gt_i32_e32 vcc_lo, s15, v22
	v_dual_cndmask_b32 v25, v25, v26 :: v_dual_cndmask_b32 v24, v24, v15
	global_load_b32 v15, v[24:25], off
.LBB25_37:
	s_or_b32 exec_lo, exec_lo, s0
	v_lshlrev_b32_e32 v24, 4, v16
	v_lshlrev_b32_e32 v22, 2, v16
	s_lshl_b32 s0, s15, 2
	s_mov_b32 s2, 0
	s_addk_i32 s0, 0x4800
	v_min_i32_e32 v23, v23, v24
	s_waitcnt vmcnt(0)
	ds_store_2addr_stride64_b32 v22, v0, v1 offset0:76 offset1:80
	ds_store_2addr_stride64_b32 v22, v2, v3 offset0:84 offset1:88
	s_mov_b32 s1, exec_lo
	ds_store_2addr_stride64_b32 v22, v4, v5 offset0:92 offset1:96
	ds_store_2addr_stride64_b32 v22, v6, v7 offset0:100 offset1:104
	;; [unrolled: 1-line block ×6, first 2 shown]
	v_sub_nc_u32_e32 v0, v23, v17
	v_min_i32_e32 v1, s15, v23
	s_waitcnt lgkmcnt(0)
	s_barrier
	buffer_gl0_inv
	v_max_i32_e32 v0, 0, v0
	s_delay_alu instid0(VALU_DEP_1)
	v_cmpx_lt_i32_e64 v0, v1
	s_cbranch_execz .LBB25_41
; %bb.38:
	v_lshlrev_b32_e32 v2, 2, v23
	s_delay_alu instid0(VALU_DEP_1)
	v_add3_u32 v2, s0, v2, 0x400
	.p2align	6
.LBB25_39:                              ; =>This Inner Loop Header: Depth=1
	v_add_nc_u32_e32 v3, v1, v0
	s_delay_alu instid0(VALU_DEP_1) | instskip(NEXT) | instid1(VALU_DEP_1)
	v_ashrrev_i32_e32 v3, 1, v3
	v_not_b32_e32 v4, v3
	v_add_nc_u32_e32 v6, 1, v3
	v_lshlrev_b32_e32 v5, 2, v3
	s_delay_alu instid0(VALU_DEP_3)
	v_lshl_add_u32 v4, v4, 2, v2
	ds_load_b32 v5, v5 offset:19456
	ds_load_b32 v4, v4
	s_waitcnt lgkmcnt(0)
	v_cmp_lt_i32_e32 vcc_lo, v4, v5
	v_dual_cndmask_b32 v0, v6, v0 :: v_dual_cndmask_b32 v1, v1, v3
	s_delay_alu instid0(VALU_DEP_1) | instskip(SKIP_1) | instid1(SALU_CYCLE_1)
	v_cmp_ge_i32_e32 vcc_lo, v0, v1
	s_or_b32 s2, vcc_lo, s2
	s_and_not1_b32 exec_lo, exec_lo, s2
	s_cbranch_execnz .LBB25_39
; %bb.40:
	s_or_b32 exec_lo, exec_lo, s2
.LBB25_41:
	s_delay_alu instid0(SALU_CYCLE_1) | instskip(SKIP_3) | instid1(VALU_DEP_1)
	s_or_b32 exec_lo, exec_lo, s1
	v_dual_mov_b32 v2, 0 :: v_dual_add_nc_u32 v3, 0x4800, v22
	v_sub_nc_u32_e32 v4, v23, v0
	s_mov_b32 s1, exec_lo
	v_cmpx_lt_i32_e64 v4, v17
	s_cbranch_execz .LBB25_71
; %bb.42:
	v_lshl_add_u32 v5, v4, 2, s0
	v_dual_mov_b32 v1, 0 :: v_dual_mov_b32 v6, v0
	s_mov_b32 s2, exec_lo
	ds_load_b32 v2, v5 offset:1024
	v_cmpx_lt_i32_e32 0, v0
	s_cbranch_execnz .LBB25_47
; %bb.43:
	s_or_b32 exec_lo, exec_lo, s2
	s_delay_alu instid0(SALU_CYCLE_1)
	s_mov_b32 s2, exec_lo
	v_cmpx_lt_i32_e64 v1, v6
	s_cbranch_execnz .LBB25_48
.LBB25_44:
	s_or_b32 exec_lo, exec_lo, s2
	s_delay_alu instid0(SALU_CYCLE_1)
	s_mov_b32 s2, exec_lo
	v_cmpx_lt_i32_e64 v1, v6
	s_cbranch_execnz .LBB25_49
.LBB25_45:
	s_or_b32 exec_lo, exec_lo, s2
	s_delay_alu instid0(SALU_CYCLE_1)
	s_mov_b32 s2, exec_lo
	v_cmpx_lt_i32_e64 v1, v6
	s_cbranch_execnz .LBB25_50
.LBB25_46:
	s_or_b32 exec_lo, exec_lo, s2
	s_delay_alu instid0(SALU_CYCLE_1)
	s_mov_b32 s2, exec_lo
	v_cmpx_lt_i32_e64 v1, v6
	s_cbranch_execnz .LBB25_51
	s_branch .LBB25_54
.LBB25_47:
	v_mul_lo_u32 v1, 0x1ff, v0
	s_delay_alu instid0(VALU_DEP_1) | instskip(NEXT) | instid1(VALU_DEP_1)
	v_ashrrev_i32_e32 v6, 9, v1
	v_lshlrev_b32_e32 v1, 2, v6
	v_add_nc_u32_e32 v7, 1, v6
	ds_load_b32 v1, v1 offset:19456
	s_waitcnt lgkmcnt(0)
	v_cmp_lt_i32_e32 vcc_lo, v1, v2
	v_dual_cndmask_b32 v6, v6, v0 :: v_dual_cndmask_b32 v1, 0, v7
	s_or_b32 exec_lo, exec_lo, s2
	s_delay_alu instid0(SALU_CYCLE_1) | instskip(NEXT) | instid1(VALU_DEP_1)
	s_mov_b32 s2, exec_lo
	v_cmpx_lt_i32_e64 v1, v6
	s_cbranch_execz .LBB25_44
.LBB25_48:
	v_sub_nc_u32_e32 v7, v1, v6
	s_delay_alu instid0(VALU_DEP_1) | instskip(NEXT) | instid1(VALU_DEP_1)
	v_lshl_add_u32 v7, v6, 7, v7
	v_ashrrev_i32_e32 v7, 7, v7
	s_delay_alu instid0(VALU_DEP_1)
	v_add_nc_u32_e32 v9, 1, v7
	v_lshlrev_b32_e32 v8, 2, v7
	ds_load_b32 v8, v8 offset:19456
	s_waitcnt lgkmcnt(0)
	v_cmp_lt_i32_e32 vcc_lo, v8, v2
	v_dual_cndmask_b32 v6, v7, v6 :: v_dual_cndmask_b32 v1, v1, v9
	s_or_b32 exec_lo, exec_lo, s2
	s_delay_alu instid0(SALU_CYCLE_1) | instskip(NEXT) | instid1(VALU_DEP_1)
	s_mov_b32 s2, exec_lo
	v_cmpx_lt_i32_e64 v1, v6
	s_cbranch_execz .LBB25_45
.LBB25_49:
	v_sub_nc_u32_e32 v7, v1, v6
	s_delay_alu instid0(VALU_DEP_1) | instskip(NEXT) | instid1(VALU_DEP_1)
	v_lshl_add_u32 v7, v6, 5, v7
	v_ashrrev_i32_e32 v7, 5, v7
	s_delay_alu instid0(VALU_DEP_1)
	v_add_nc_u32_e32 v9, 1, v7
	v_lshlrev_b32_e32 v8, 2, v7
	ds_load_b32 v8, v8 offset:19456
	s_waitcnt lgkmcnt(0)
	v_cmp_lt_i32_e32 vcc_lo, v8, v2
	v_dual_cndmask_b32 v6, v7, v6 :: v_dual_cndmask_b32 v1, v1, v9
	s_or_b32 exec_lo, exec_lo, s2
	s_delay_alu instid0(SALU_CYCLE_1) | instskip(NEXT) | instid1(VALU_DEP_1)
	s_mov_b32 s2, exec_lo
	v_cmpx_lt_i32_e64 v1, v6
	s_cbranch_execz .LBB25_46
.LBB25_50:
	v_sub_nc_u32_e32 v7, v1, v6
	s_delay_alu instid0(VALU_DEP_1) | instskip(NEXT) | instid1(VALU_DEP_1)
	v_lshl_add_u32 v7, v6, 4, v7
	v_ashrrev_i32_e32 v7, 4, v7
	s_delay_alu instid0(VALU_DEP_1)
	v_add_nc_u32_e32 v9, 1, v7
	v_lshlrev_b32_e32 v8, 2, v7
	ds_load_b32 v8, v8 offset:19456
	s_waitcnt lgkmcnt(0)
	v_cmp_lt_i32_e32 vcc_lo, v8, v2
	v_dual_cndmask_b32 v6, v7, v6 :: v_dual_cndmask_b32 v1, v1, v9
	s_or_b32 exec_lo, exec_lo, s2
	s_delay_alu instid0(SALU_CYCLE_1) | instskip(NEXT) | instid1(VALU_DEP_1)
	s_mov_b32 s2, exec_lo
	v_cmpx_lt_i32_e64 v1, v6
	s_cbranch_execz .LBB25_54
.LBB25_51:
	s_mov_b32 s3, 0
.LBB25_52:                              ; =>This Inner Loop Header: Depth=1
	v_sub_nc_u32_e32 v7, v1, v6
	s_delay_alu instid0(VALU_DEP_1) | instskip(NEXT) | instid1(VALU_DEP_1)
	v_lshl_add_u32 v7, v6, 1, v7
	v_ashrrev_i32_e32 v7, 1, v7
	s_delay_alu instid0(VALU_DEP_1)
	v_add_nc_u32_e32 v9, 1, v7
	v_lshlrev_b32_e32 v8, 2, v7
	ds_load_b32 v8, v8 offset:19456
	s_waitcnt lgkmcnt(0)
	v_cmp_lt_i32_e32 vcc_lo, v8, v2
	v_dual_cndmask_b32 v6, v7, v6 :: v_dual_cndmask_b32 v1, v1, v9
	s_delay_alu instid0(VALU_DEP_1) | instskip(SKIP_1) | instid1(SALU_CYCLE_1)
	v_cmp_ge_i32_e32 vcc_lo, v1, v6
	s_or_b32 s3, vcc_lo, s3
	s_and_not1_b32 exec_lo, exec_lo, s3
	s_cbranch_execnz .LBB25_52
; %bb.53:
	s_or_b32 exec_lo, exec_lo, s3
.LBB25_54:
	s_delay_alu instid0(SALU_CYCLE_1)
	s_or_b32 exec_lo, exec_lo, s2
	v_dual_mov_b32 v6, 0 :: v_dual_add_nc_u32 v5, 0x400, v5
	v_mov_b32_e32 v7, v4
	s_mov_b32 s2, exec_lo
	v_cmpx_lt_i32_e32 0, v4
	s_cbranch_execnz .LBB25_59
; %bb.55:
	s_or_b32 exec_lo, exec_lo, s2
	s_delay_alu instid0(SALU_CYCLE_1)
	s_mov_b32 s2, exec_lo
	v_cmpx_lt_i32_e64 v6, v7
	s_cbranch_execnz .LBB25_60
.LBB25_56:
	s_or_b32 exec_lo, exec_lo, s2
	s_delay_alu instid0(SALU_CYCLE_1)
	s_mov_b32 s2, exec_lo
	v_cmpx_lt_i32_e64 v6, v7
	s_cbranch_execnz .LBB25_61
.LBB25_57:
	s_or_b32 exec_lo, exec_lo, s2
	s_delay_alu instid0(SALU_CYCLE_1)
	s_mov_b32 s2, exec_lo
	v_cmpx_lt_i32_e64 v6, v7
	s_cbranch_execnz .LBB25_62
.LBB25_58:
	s_or_b32 exec_lo, exec_lo, s2
	s_delay_alu instid0(SALU_CYCLE_1)
	s_mov_b32 s2, exec_lo
	v_cmpx_lt_i32_e64 v6, v7
	s_cbranch_execnz .LBB25_63
	s_branch .LBB25_66
.LBB25_59:
	v_mul_lo_u32 v6, 0x1ff, v4
	s_delay_alu instid0(VALU_DEP_1) | instskip(NEXT) | instid1(VALU_DEP_1)
	v_ashrrev_i32_e32 v7, 9, v6
	v_lshl_add_u32 v6, v7, 2, s0
	ds_load_b32 v6, v6 offset:1024
	s_waitcnt lgkmcnt(0)
	v_cmp_lt_i32_e32 vcc_lo, v6, v2
	v_dual_cndmask_b32 v7, v7, v4 :: v_dual_add_nc_u32 v8, 1, v7
	s_delay_alu instid0(VALU_DEP_1) | instskip(SKIP_1) | instid1(SALU_CYCLE_1)
	v_cndmask_b32_e32 v6, 0, v8, vcc_lo
	s_or_b32 exec_lo, exec_lo, s2
	s_mov_b32 s2, exec_lo
	s_delay_alu instid0(VALU_DEP_1)
	v_cmpx_lt_i32_e64 v6, v7
	s_cbranch_execz .LBB25_56
.LBB25_60:
	v_sub_nc_u32_e32 v8, v6, v7
	s_delay_alu instid0(VALU_DEP_1) | instskip(NEXT) | instid1(VALU_DEP_1)
	v_lshl_add_u32 v8, v7, 7, v8
	v_ashrrev_i32_e32 v8, 7, v8
	s_delay_alu instid0(VALU_DEP_1) | instskip(SKIP_4) | instid1(VALU_DEP_1)
	v_lshl_add_u32 v9, v8, 2, s0
	ds_load_b32 v9, v9 offset:1024
	s_waitcnt lgkmcnt(0)
	v_cmp_lt_i32_e32 vcc_lo, v9, v2
	v_dual_cndmask_b32 v7, v8, v7 :: v_dual_add_nc_u32 v10, 1, v8
	v_cndmask_b32_e32 v6, v6, v10, vcc_lo
	s_or_b32 exec_lo, exec_lo, s2
	s_delay_alu instid0(SALU_CYCLE_1) | instskip(NEXT) | instid1(VALU_DEP_1)
	s_mov_b32 s2, exec_lo
	v_cmpx_lt_i32_e64 v6, v7
	s_cbranch_execz .LBB25_57
.LBB25_61:
	v_sub_nc_u32_e32 v8, v6, v7
	s_delay_alu instid0(VALU_DEP_1) | instskip(NEXT) | instid1(VALU_DEP_1)
	v_lshl_add_u32 v8, v7, 5, v8
	v_ashrrev_i32_e32 v8, 5, v8
	s_delay_alu instid0(VALU_DEP_1) | instskip(SKIP_4) | instid1(VALU_DEP_1)
	v_lshl_add_u32 v9, v8, 2, s0
	ds_load_b32 v9, v9 offset:1024
	s_waitcnt lgkmcnt(0)
	v_cmp_lt_i32_e32 vcc_lo, v9, v2
	v_dual_cndmask_b32 v7, v8, v7 :: v_dual_add_nc_u32 v10, 1, v8
	v_cndmask_b32_e32 v6, v6, v10, vcc_lo
	s_or_b32 exec_lo, exec_lo, s2
	s_delay_alu instid0(SALU_CYCLE_1) | instskip(NEXT) | instid1(VALU_DEP_1)
	s_mov_b32 s2, exec_lo
	v_cmpx_lt_i32_e64 v6, v7
	s_cbranch_execz .LBB25_58
.LBB25_62:
	v_sub_nc_u32_e32 v8, v6, v7
	s_delay_alu instid0(VALU_DEP_1) | instskip(NEXT) | instid1(VALU_DEP_1)
	v_lshl_add_u32 v8, v7, 4, v8
	v_ashrrev_i32_e32 v8, 4, v8
	s_delay_alu instid0(VALU_DEP_1) | instskip(SKIP_4) | instid1(VALU_DEP_1)
	v_lshl_add_u32 v9, v8, 2, s0
	ds_load_b32 v9, v9 offset:1024
	s_waitcnt lgkmcnt(0)
	v_cmp_lt_i32_e32 vcc_lo, v9, v2
	v_dual_cndmask_b32 v7, v8, v7 :: v_dual_add_nc_u32 v10, 1, v8
	v_cndmask_b32_e32 v6, v6, v10, vcc_lo
	s_or_b32 exec_lo, exec_lo, s2
	s_delay_alu instid0(SALU_CYCLE_1) | instskip(NEXT) | instid1(VALU_DEP_1)
	s_mov_b32 s2, exec_lo
	v_cmpx_lt_i32_e64 v6, v7
	s_cbranch_execz .LBB25_66
.LBB25_63:
	s_add_i32 s3, s0, 0x400
	s_mov_b32 s0, 0
.LBB25_64:                              ; =>This Inner Loop Header: Depth=1
	v_sub_nc_u32_e32 v8, v6, v7
	s_delay_alu instid0(VALU_DEP_1) | instskip(NEXT) | instid1(VALU_DEP_1)
	v_lshl_add_u32 v8, v7, 1, v8
	v_ashrrev_i32_e32 v8, 1, v8
	s_delay_alu instid0(VALU_DEP_1) | instskip(SKIP_4) | instid1(VALU_DEP_1)
	v_lshl_add_u32 v9, v8, 2, s3
	ds_load_b32 v9, v9
	s_waitcnt lgkmcnt(0)
	v_cmp_lt_i32_e32 vcc_lo, v9, v2
	v_dual_cndmask_b32 v7, v8, v7 :: v_dual_add_nc_u32 v10, 1, v8
	v_cndmask_b32_e32 v6, v6, v10, vcc_lo
	s_delay_alu instid0(VALU_DEP_1) | instskip(SKIP_1) | instid1(SALU_CYCLE_1)
	v_cmp_ge_i32_e32 vcc_lo, v6, v7
	s_or_b32 s0, vcc_lo, s0
	s_and_not1_b32 exec_lo, exec_lo, s0
	s_cbranch_execnz .LBB25_64
; %bb.65:
	s_or_b32 exec_lo, exec_lo, s0
.LBB25_66:
	s_delay_alu instid0(SALU_CYCLE_1) | instskip(SKIP_4) | instid1(VALU_DEP_1)
	s_or_b32 exec_lo, exec_lo, s2
	v_sub_nc_u32_e32 v0, v0, v1
	v_sub_nc_u32_e32 v8, v4, v6
	s_mov_b32 s2, 0
	s_mov_b32 s0, exec_lo
	v_add_nc_u32_e32 v7, v8, v0
	s_delay_alu instid0(VALU_DEP_1) | instskip(NEXT) | instid1(VALU_DEP_1)
	v_ashrrev_i32_e32 v0, 1, v7
	v_max_i32_e32 v0, v0, v8
	s_delay_alu instid0(VALU_DEP_1) | instskip(NEXT) | instid1(VALU_DEP_1)
	v_add3_u32 v6, v6, v0, 1
	v_min_i32_e32 v6, v6, v17
	s_delay_alu instid0(VALU_DEP_1) | instskip(SKIP_1) | instid1(VALU_DEP_2)
	v_sub_nc_u32_e32 v6, v6, v4
	v_mov_b32_e32 v4, 0
	v_cmpx_lt_i32_e32 0, v6
	s_cbranch_execz .LBB25_70
; %bb.67:
	v_mov_b32_e32 v4, 0
.LBB25_68:                              ; =>This Inner Loop Header: Depth=1
	s_delay_alu instid0(VALU_DEP_1) | instskip(NEXT) | instid1(VALU_DEP_1)
	v_add_nc_u32_e32 v9, v4, v6
	v_ashrrev_i32_e32 v9, 1, v9
	s_delay_alu instid0(VALU_DEP_1)
	v_lshl_add_u32 v10, v9, 2, v5
	v_add_nc_u32_e32 v11, 1, v9
	ds_load_b32 v10, v10
	s_waitcnt lgkmcnt(0)
	v_cmp_gt_i32_e32 vcc_lo, v10, v2
	v_cndmask_b32_e32 v4, v11, v4, vcc_lo
	v_cndmask_b32_e32 v6, v6, v9, vcc_lo
	s_delay_alu instid0(VALU_DEP_1) | instskip(SKIP_1) | instid1(SALU_CYCLE_1)
	v_cmp_ge_i32_e32 vcc_lo, v4, v6
	s_or_b32 s2, vcc_lo, s2
	s_and_not1_b32 exec_lo, exec_lo, s2
	s_cbranch_execnz .LBB25_68
; %bb.69:
	s_or_b32 exec_lo, exec_lo, s2
.LBB25_70:
	s_delay_alu instid0(SALU_CYCLE_1) | instskip(SKIP_2) | instid1(VALU_DEP_1)
	s_or_b32 exec_lo, exec_lo, s0
	s_waitcnt lgkmcnt(0)
	v_add_nc_u32_e32 v2, v4, v8
	v_min_i32_e32 v4, v2, v0
	v_cmp_lt_i32_e32 vcc_lo, v0, v2
	s_delay_alu instid0(VALU_DEP_2) | instskip(SKIP_1) | instid1(VALU_DEP_2)
	v_sub_nc_u32_e32 v5, v7, v4
	v_add_nc_u32_e32 v4, 1, v4
	v_add_nc_u32_e32 v0, v5, v1
	s_delay_alu instid0(VALU_DEP_2) | instskip(NEXT) | instid1(VALU_DEP_1)
	v_cmp_eq_u32_e64 s0, v5, v4
	s_and_b32 s0, vcc_lo, s0
	s_delay_alu instid0(SALU_CYCLE_1)
	v_cndmask_b32_e64 v2, 0, 1, s0
.LBB25_71:
	s_or_b32 exec_lo, exec_lo, s1
	s_delay_alu instid0(VALU_DEP_1)
	v_add_nc_u32_e32 v1, v2, v23
	s_lshl_b32 s0, s15, 16
	v_add_nc_u32_e32 v2, -1, v16
	v_or_b32_e32 v4, s0, v17
	v_cmp_eq_u32_e64 s0, 0, v16
	v_sub_nc_u32_e32 v8, v1, v0
	v_lshlrev_b32_e32 v7, 2, v0
	s_delay_alu instid0(VALU_DEP_2) | instskip(NEXT) | instid1(VALU_DEP_1)
	v_lshl_or_b32 v5, v0, 16, v8
	v_cndmask_b32_e64 v4, v5, v4, s0
	v_cndmask_b32_e64 v5, v2, 0xff, s0
	v_add_nc_u32_e32 v2, s15, v8
	s_delay_alu instid0(VALU_DEP_2) | instskip(NEXT) | instid1(VALU_DEP_2)
	v_lshlrev_b32_e32 v6, 2, v5
	v_lshlrev_b32_e32 v5, 2, v2
	ds_store_b32 v6, v4 offset:18432
	s_waitcnt lgkmcnt(0)
	s_barrier
	buffer_gl0_inv
	ds_load_b32 v3, v3
	ds_load_b32 v15, v7 offset:19456
	ds_load_b32 v6, v5 offset:19456
	s_waitcnt lgkmcnt(1)
	v_dual_mov_b32 v23, v15 :: v_dual_and_b32 v4, 0xffff, v3
	v_ashrrev_i32_e32 v3, 16, v3
	s_waitcnt lgkmcnt(0)
	v_cmp_lt_i32_e32 vcc_lo, v6, v15
	s_delay_alu instid0(VALU_DEP_2) | instskip(SKIP_2) | instid1(VALU_DEP_3)
	v_cmp_le_i32_e64 s2, v3, v0
	v_cndmask_b32_e64 v9, 0, 1, vcc_lo
	v_cmp_le_i32_e32 vcc_lo, v4, v8
	v_cndmask_b32_e64 v8, 0, 1, s2
	s_or_b32 s1, s2, vcc_lo
	s_delay_alu instid0(VALU_DEP_1) | instid1(SALU_CYCLE_1)
	v_cndmask_b32_e64 v8, v9, v8, s1
	s_delay_alu instid0(VALU_DEP_1) | instskip(NEXT) | instid1(VALU_DEP_1)
	v_and_b32_e32 v8, 1, v8
	v_cmp_eq_u32_e64 s3, 1, v8
	s_delay_alu instid0(VALU_DEP_1) | instskip(NEXT) | instid1(SALU_CYCLE_1)
	s_xor_b32 s4, s3, -1
	s_and_saveexec_b32 s3, s4
	s_cbranch_execz .LBB25_73
; %bb.72:
	ds_load_b32 v23, v7 offset:19460
	v_add_nc_u32_e32 v0, 1, v0
.LBB25_73:
	s_or_b32 exec_lo, exec_lo, s3
	s_xor_b32 s3, s2, -1
	v_cmp_lt_i32_e64 s2, v15, v6
	s_delay_alu instid0(VALU_DEP_1) | instskip(SKIP_1) | instid1(SALU_CYCLE_1)
	v_cndmask_b32_e64 v7, 0, 1, s2
	s_and_b32 s2, vcc_lo, s3
	v_cndmask_b32_e64 v8, 0, 1, s2
	s_delay_alu instid0(VALU_DEP_1) | instskip(NEXT) | instid1(VALU_DEP_1)
	v_cndmask_b32_e64 v7, v7, v8, s1
	v_and_b32_e32 v7, 1, v7
	s_delay_alu instid0(VALU_DEP_1) | instskip(SKIP_1) | instid1(SALU_CYCLE_1)
	v_cmp_eq_u32_e32 vcc_lo, 1, v7
	s_xor_b32 s2, vcc_lo, -1
	s_and_saveexec_b32 s1, s2
	s_cbranch_execz .LBB25_75
; %bb.74:
	ds_load_b32 v6, v5 offset:19460
	v_add_nc_u32_e32 v2, 1, v2
.LBB25_75:
	s_or_b32 exec_lo, exec_lo, s1
	s_waitcnt lgkmcnt(0)
	v_dual_mov_b32 v24, v23 :: v_dual_add_nc_u32 v7, s15, v4
	v_cmp_ge_i32_e64 s1, v0, v3
	v_cmp_lt_i32_e64 s3, v6, v23
	s_delay_alu instid0(VALU_DEP_3) | instskip(NEXT) | instid1(VALU_DEP_3)
	v_cmp_ge_i32_e64 s2, v2, v7
	v_cndmask_b32_e64 v4, 0, 1, s1
	s_delay_alu instid0(VALU_DEP_3) | instskip(NEXT) | instid1(VALU_DEP_3)
	v_cndmask_b32_e64 v5, 0, 1, s3
	s_or_b32 s3, s1, s2
	s_delay_alu instid0(VALU_DEP_1) | instid1(SALU_CYCLE_1)
	v_cndmask_b32_e64 v4, v5, v4, s3
	s_delay_alu instid0(VALU_DEP_1) | instskip(NEXT) | instid1(VALU_DEP_1)
	v_and_b32_e32 v4, 1, v4
	v_cmp_eq_u32_e64 s3, 1, v4
	v_mov_b32_e32 v4, v0
	s_delay_alu instid0(VALU_DEP_2) | instskip(NEXT) | instid1(SALU_CYCLE_1)
	s_xor_b32 s4, s3, -1
	s_and_saveexec_b32 s3, s4
	s_cbranch_execz .LBB25_77
; %bb.76:
	v_lshlrev_b32_e32 v4, 2, v0
	ds_load_b32 v24, v4 offset:19460
	v_add_nc_u32_e32 v4, 1, v0
.LBB25_77:
	s_or_b32 exec_lo, exec_lo, s3
	v_cmp_lt_i32_e64 s3, v23, v6
	s_xor_b32 s1, s1, -1
	v_mov_b32_e32 v5, v2
	s_delay_alu instid0(VALU_DEP_2) | instskip(NEXT) | instid1(SALU_CYCLE_1)
	s_or_b32 s2, s2, s3
	s_and_b32 s24, s1, s2
	s_delay_alu instid0(SALU_CYCLE_1) | instskip(NEXT) | instid1(SALU_CYCLE_1)
	s_xor_b32 s2, s24, -1
	s_and_saveexec_b32 s1, s2
	s_cbranch_execz .LBB25_79
; %bb.78:
	v_lshlrev_b32_e32 v5, 2, v2
	ds_load_b32 v6, v5 offset:19460
	v_add_nc_u32_e32 v5, 1, v2
.LBB25_79:
	s_or_b32 exec_lo, exec_lo, s1
	v_cmp_ge_i32_e64 s1, v4, v3
	s_waitcnt lgkmcnt(0)
	v_cmp_lt_i32_e64 s3, v6, v24
	v_cmp_ge_i32_e64 s2, v5, v7
	v_mov_b32_e32 v25, v24
	v_cndmask_b32_e64 v8, 0, 1, s1
	s_delay_alu instid0(VALU_DEP_4) | instskip(NEXT) | instid1(VALU_DEP_4)
	v_cndmask_b32_e64 v9, 0, 1, s3
	s_or_b32 s3, s1, s2
	s_delay_alu instid0(VALU_DEP_1) | instid1(SALU_CYCLE_1)
	v_cndmask_b32_e64 v8, v9, v8, s3
	s_delay_alu instid0(VALU_DEP_1) | instskip(NEXT) | instid1(VALU_DEP_1)
	v_and_b32_e32 v8, 1, v8
	v_cmp_eq_u32_e64 s3, 1, v8
	v_mov_b32_e32 v8, v4
	s_delay_alu instid0(VALU_DEP_2) | instskip(NEXT) | instid1(SALU_CYCLE_1)
	s_xor_b32 s4, s3, -1
	s_and_saveexec_b32 s3, s4
	s_cbranch_execz .LBB25_81
; %bb.80:
	v_lshlrev_b32_e32 v8, 2, v4
	ds_load_b32 v25, v8 offset:19460
	v_add_nc_u32_e32 v8, 1, v4
.LBB25_81:
	s_or_b32 exec_lo, exec_lo, s3
	v_cmp_lt_i32_e64 s3, v24, v6
	s_xor_b32 s1, s1, -1
	v_mov_b32_e32 v9, v5
	s_delay_alu instid0(VALU_DEP_2) | instskip(NEXT) | instid1(SALU_CYCLE_1)
	s_or_b32 s2, s2, s3
	s_and_b32 s23, s1, s2
	s_delay_alu instid0(SALU_CYCLE_1) | instskip(NEXT) | instid1(SALU_CYCLE_1)
	s_xor_b32 s2, s23, -1
	s_and_saveexec_b32 s1, s2
	s_cbranch_execz .LBB25_83
; %bb.82:
	v_lshlrev_b32_e32 v6, 2, v5
	v_add_nc_u32_e32 v9, 1, v5
	ds_load_b32 v6, v6 offset:19460
.LBB25_83:
	s_or_b32 exec_lo, exec_lo, s1
	v_cmp_ge_i32_e64 s1, v8, v3
	s_waitcnt lgkmcnt(0)
	v_cmp_lt_i32_e64 s3, v6, v25
	v_cmp_ge_i32_e64 s2, v9, v7
	v_mov_b32_e32 v26, v25
	v_cndmask_b32_e64 v10, 0, 1, s1
	s_delay_alu instid0(VALU_DEP_4) | instskip(NEXT) | instid1(VALU_DEP_4)
	v_cndmask_b32_e64 v11, 0, 1, s3
	s_or_b32 s3, s1, s2
	s_delay_alu instid0(VALU_DEP_1) | instid1(SALU_CYCLE_1)
	v_cndmask_b32_e64 v10, v11, v10, s3
	s_delay_alu instid0(VALU_DEP_1) | instskip(NEXT) | instid1(VALU_DEP_1)
	v_and_b32_e32 v10, 1, v10
	v_cmp_eq_u32_e64 s3, 1, v10
	v_mov_b32_e32 v10, v8
	s_delay_alu instid0(VALU_DEP_2) | instskip(NEXT) | instid1(SALU_CYCLE_1)
	s_xor_b32 s4, s3, -1
	s_and_saveexec_b32 s3, s4
	s_cbranch_execz .LBB25_85
; %bb.84:
	v_lshlrev_b32_e32 v10, 2, v8
	ds_load_b32 v26, v10 offset:19460
	v_add_nc_u32_e32 v10, 1, v8
.LBB25_85:
	s_or_b32 exec_lo, exec_lo, s3
	v_cmp_lt_i32_e64 s3, v25, v6
	s_xor_b32 s1, s1, -1
	v_mov_b32_e32 v11, v9
	s_delay_alu instid0(VALU_DEP_2) | instskip(NEXT) | instid1(SALU_CYCLE_1)
	s_or_b32 s2, s2, s3
	s_and_b32 s25, s1, s2
	s_delay_alu instid0(SALU_CYCLE_1) | instskip(NEXT) | instid1(SALU_CYCLE_1)
	s_xor_b32 s2, s25, -1
	s_and_saveexec_b32 s1, s2
	s_cbranch_execz .LBB25_87
; %bb.86:
	v_lshlrev_b32_e32 v6, 2, v9
	v_add_nc_u32_e32 v11, 1, v9
	ds_load_b32 v6, v6 offset:19460
.LBB25_87:
	;; [unrolled: 41-line block ×3, first 2 shown]
	s_or_b32 exec_lo, exec_lo, s1
	v_cmp_ge_i32_e64 s1, v12, v3
	s_waitcnt lgkmcnt(0)
	v_cmp_lt_i32_e64 s3, v6, v27
	v_cmp_ge_i32_e64 s2, v13, v7
	s_delay_alu instid0(VALU_DEP_3) | instskip(NEXT) | instid1(VALU_DEP_3)
	v_cndmask_b32_e64 v14, 0, 1, s1
	v_cndmask_b32_e64 v28, 0, 1, s3
	s_delay_alu instid0(VALU_DEP_3)
	s_or_b32 s3, s1, s2
	s_delay_alu instid0(VALU_DEP_1) | instid1(SALU_CYCLE_1)
	v_cndmask_b32_e64 v14, v28, v14, s3
	v_mov_b32_e32 v28, v27
	s_delay_alu instid0(VALU_DEP_2) | instskip(NEXT) | instid1(VALU_DEP_1)
	v_and_b32_e32 v14, 1, v14
	v_cmp_eq_u32_e64 s3, 1, v14
	v_mov_b32_e32 v14, v12
	s_delay_alu instid0(VALU_DEP_2) | instskip(NEXT) | instid1(SALU_CYCLE_1)
	s_xor_b32 s4, s3, -1
	s_and_saveexec_b32 s3, s4
	s_cbranch_execz .LBB25_93
; %bb.92:
	v_lshlrev_b32_e32 v14, 2, v12
	ds_load_b32 v28, v14 offset:19460
	v_add_nc_u32_e32 v14, 1, v12
.LBB25_93:
	s_or_b32 exec_lo, exec_lo, s3
	v_cmp_lt_i32_e64 s3, v27, v6
	s_xor_b32 s1, s1, -1
	v_mov_b32_e32 v38, v13
	s_delay_alu instid0(VALU_DEP_2) | instskip(NEXT) | instid1(SALU_CYCLE_1)
	s_or_b32 s2, s2, s3
	s_and_b32 s27, s1, s2
	s_delay_alu instid0(SALU_CYCLE_1) | instskip(NEXT) | instid1(SALU_CYCLE_1)
	s_xor_b32 s2, s27, -1
	s_and_saveexec_b32 s1, s2
	s_cbranch_execz .LBB25_95
; %bb.94:
	v_lshlrev_b32_e32 v6, 2, v13
	v_add_nc_u32_e32 v38, 1, v13
	ds_load_b32 v6, v6 offset:19460
.LBB25_95:
	s_or_b32 exec_lo, exec_lo, s1
	v_cmp_ge_i32_e64 s1, v14, v3
	s_waitcnt lgkmcnt(0)
	v_cmp_lt_i32_e64 s3, v6, v28
	v_cmp_ge_i32_e64 s2, v38, v7
	v_mov_b32_e32 v39, v14
	v_cndmask_b32_e64 v29, 0, 1, s1
	s_delay_alu instid0(VALU_DEP_4) | instskip(NEXT) | instid1(VALU_DEP_4)
	v_cndmask_b32_e64 v30, 0, 1, s3
	s_or_b32 s3, s1, s2
	s_delay_alu instid0(VALU_DEP_1) | instid1(SALU_CYCLE_1)
	v_cndmask_b32_e64 v29, v30, v29, s3
	s_delay_alu instid0(VALU_DEP_1) | instskip(NEXT) | instid1(VALU_DEP_1)
	v_and_b32_e32 v29, 1, v29
	v_cmp_eq_u32_e64 s3, 1, v29
	v_mov_b32_e32 v29, v28
	s_delay_alu instid0(VALU_DEP_2) | instskip(NEXT) | instid1(SALU_CYCLE_1)
	s_xor_b32 s4, s3, -1
	s_and_saveexec_b32 s3, s4
	s_cbranch_execz .LBB25_97
; %bb.96:
	v_lshlrev_b32_e32 v29, 2, v14
	v_add_nc_u32_e32 v39, 1, v14
	ds_load_b32 v29, v29 offset:19460
.LBB25_97:
	s_or_b32 exec_lo, exec_lo, s3
	v_cmp_lt_i32_e64 s3, v28, v6
	s_xor_b32 s1, s1, -1
	v_mov_b32_e32 v40, v38
	s_delay_alu instid0(VALU_DEP_2) | instskip(NEXT) | instid1(SALU_CYCLE_1)
	s_or_b32 s2, s2, s3
	s_and_b32 s28, s1, s2
	s_delay_alu instid0(SALU_CYCLE_1) | instskip(NEXT) | instid1(SALU_CYCLE_1)
	s_xor_b32 s2, s28, -1
	s_and_saveexec_b32 s1, s2
	s_cbranch_execz .LBB25_99
; %bb.98:
	v_lshlrev_b32_e32 v6, 2, v38
	v_add_nc_u32_e32 v40, 1, v38
	ds_load_b32 v6, v6 offset:19460
.LBB25_99:
	s_or_b32 exec_lo, exec_lo, s1
	v_cmp_ge_i32_e64 s1, v39, v3
	s_waitcnt lgkmcnt(0)
	v_cmp_lt_i32_e64 s3, v6, v29
	v_cmp_ge_i32_e64 s2, v40, v7
	v_mov_b32_e32 v41, v39
	v_cndmask_b32_e64 v30, 0, 1, s1
	s_delay_alu instid0(VALU_DEP_4) | instskip(NEXT) | instid1(VALU_DEP_4)
	v_cndmask_b32_e64 v31, 0, 1, s3
	s_or_b32 s3, s1, s2
	s_delay_alu instid0(VALU_DEP_1) | instid1(SALU_CYCLE_1)
	v_cndmask_b32_e64 v30, v31, v30, s3
	s_delay_alu instid0(VALU_DEP_1) | instskip(NEXT) | instid1(VALU_DEP_1)
	v_and_b32_e32 v30, 1, v30
	v_cmp_eq_u32_e64 s3, 1, v30
	v_mov_b32_e32 v30, v29
	s_delay_alu instid0(VALU_DEP_2) | instskip(NEXT) | instid1(SALU_CYCLE_1)
	s_xor_b32 s4, s3, -1
	s_and_saveexec_b32 s3, s4
	s_cbranch_execz .LBB25_101
; %bb.100:
	v_lshlrev_b32_e32 v30, 2, v39
	v_add_nc_u32_e32 v41, 1, v39
	ds_load_b32 v30, v30 offset:19460
.LBB25_101:
	;; [unrolled: 41-line block ×8, first 2 shown]
	s_or_b32 exec_lo, exec_lo, s3
	v_cmp_lt_i32_e64 s3, v35, v6
	s_xor_b32 s1, s1, -1
	v_mov_b32_e32 v54, v52
	s_delay_alu instid0(VALU_DEP_2) | instskip(NEXT) | instid1(SALU_CYCLE_1)
	s_or_b32 s2, s2, s3
	s_and_b32 s36, s1, s2
	s_delay_alu instid0(SALU_CYCLE_1) | instskip(NEXT) | instid1(SALU_CYCLE_1)
	s_xor_b32 s2, s36, -1
	s_and_saveexec_b32 s1, s2
	s_cbranch_execz .LBB25_127
; %bb.126:
	v_lshlrev_b32_e32 v6, 2, v52
	v_add_nc_u32_e32 v54, 1, v52
	ds_load_b32 v6, v6 offset:19460
.LBB25_127:
	s_or_b32 exec_lo, exec_lo, s1
	v_cmp_ge_i32_e64 s1, v53, v3
	s_waitcnt lgkmcnt(0)
	v_cmp_lt_i32_e64 s3, v6, v36
	v_cmp_ge_i32_e64 s2, v54, v7
	s_delay_alu instid0(VALU_DEP_3) | instskip(NEXT) | instid1(VALU_DEP_3)
	v_cndmask_b32_e64 v37, 0, 1, s1
	v_cndmask_b32_e64 v55, 0, 1, s3
	s_delay_alu instid0(VALU_DEP_3)
	s_or_b32 s3, s1, s2
	s_delay_alu instid0(VALU_DEP_1) | instid1(SALU_CYCLE_1)
	v_cndmask_b32_e64 v37, v55, v37, s3
	v_mov_b32_e32 v55, v53
	s_delay_alu instid0(VALU_DEP_2) | instskip(NEXT) | instid1(VALU_DEP_1)
	v_and_b32_e32 v37, 1, v37
	v_cmp_eq_u32_e64 s3, 1, v37
	v_mov_b32_e32 v37, v36
	s_delay_alu instid0(VALU_DEP_2) | instskip(NEXT) | instid1(SALU_CYCLE_1)
	s_xor_b32 s4, s3, -1
	s_and_saveexec_b32 s3, s4
	s_cbranch_execz .LBB25_129
; %bb.128:
	v_lshlrev_b32_e32 v37, 2, v53
	v_add_nc_u32_e32 v55, 1, v53
	ds_load_b32 v37, v37 offset:19460
.LBB25_129:
	s_or_b32 exec_lo, exec_lo, s3
	v_cmp_lt_i32_e64 s3, v36, v6
	s_xor_b32 s1, s1, -1
	v_mov_b32_e32 v56, v54
	s_delay_alu instid0(VALU_DEP_2) | instskip(NEXT) | instid1(SALU_CYCLE_1)
	s_or_b32 s2, s2, s3
	s_and_b32 s37, s1, s2
	s_delay_alu instid0(SALU_CYCLE_1) | instskip(NEXT) | instid1(SALU_CYCLE_1)
	s_xor_b32 s2, s37, -1
	s_and_saveexec_b32 s1, s2
	s_cbranch_execz .LBB25_131
; %bb.130:
	v_lshlrev_b32_e32 v6, 2, v54
	v_add_nc_u32_e32 v56, 1, v54
	ds_load_b32 v6, v6 offset:19460
.LBB25_131:
	s_or_b32 exec_lo, exec_lo, s1
	v_cmp_ge_i32_e64 s1, v56, v7
	s_waitcnt lgkmcnt(0)
	v_cmp_lt_i32_e64 s2, v37, v6
	v_add_nc_u32_e32 v7, v7, v3
	v_cmp_lt_i32_e64 s3, v55, v3
	v_add_nc_u32_e32 v3, v54, v53
	v_add_nc_u32_e32 v6, v56, v55
	s_or_b32 s2, s1, s2
	v_add_nc_u32_e32 v0, v2, v0
	s_and_b32 s38, s3, s2
	v_cmp_lt_i32_e64 s2, v3, v7
	v_add_nc_u32_e32 v3, v40, v39
	v_add_nc_u32_e32 v1, s15, v1
	v_dual_mov_b32 v9, 0 :: v_dual_add_nc_u32 v2, v9, v8
	v_cmp_lt_i32_e64 s1, v6, v7
	s_delay_alu instid0(VALU_DEP_4)
	v_cmp_lt_i32_e64 s7, v3, v7
	v_add_nc_u32_e32 v3, v5, v4
	v_add_nc_u32_e32 v6, v52, v51
	;; [unrolled: 1-line block ×3, first 2 shown]
	v_cmp_lt_i32_e64 s12, v0, v7
	v_cmp_lt_i32_e64 s14, v1, v7
	;; [unrolled: 1-line block ×4, first 2 shown]
	v_add_nc_u32_e32 v6, v38, v14
	v_add_nc_u32_e32 v12, v13, v12
	v_cmp_lt_i32_e64 s11, v4, v7
	v_cmp_lt_i32_e64 s13, v2, v7
	s_and_b32 s23, s10, s23
	s_and_b32 s12, s12, s24
	s_and_b32 s14, s14, vcc_lo
	v_cndmask_b32_e64 v0, 0, 4, s23
	v_cndmask_b32_e64 v1, 0, 2, s12
	;; [unrolled: 1-line block ×3, first 2 shown]
	v_cmp_lt_i32_e64 s8, v6, v7
	v_cmp_lt_i32_e64 s9, v12, v7
	s_and_b32 s10, s11, s26
	s_and_b32 s11, s13, s25
	v_cndmask_b32_e64 v3, 0, 16, s10
	v_cndmask_b32_e64 v4, 0, 8, s11
	v_or3_b32 v0, v1, v2, v0
	v_add_nc_u32_e32 v13, v44, v43
	v_add_nc_u32_e32 v14, v42, v41
	s_and_b32 s8, s8, s28
	s_and_b32 s9, s9, s27
	v_cndmask_b32_e64 v1, 0, 64, s8
	v_cndmask_b32_e64 v2, 0, 32, s9
	v_or3_b32 v0, v0, v4, v3
	v_add_nc_u32_e32 v47, v48, v47
	v_cmp_lt_i32_e32 vcc_lo, v13, v7
	v_add_nc_u32_e32 v45, v46, v45
	v_cmp_lt_i32_e64 s8, v14, v7
	s_and_b32 s7, s7, s29
	v_or3_b32 v43, v0, v2, v1
	v_cndmask_b32_e64 v3, 0, 0x80, s7
	v_cmp_lt_i32_e64 s5, v47, v7
	s_and_b32 s7, vcc_lo, s31
	v_add_nc_u32_e32 v49, v50, v49
	v_cmp_lt_i32_e64 s6, v45, v7
	v_cndmask_b32_e64 v0, 0, 0x200, s7
	s_and_b32 s7, s8, s30
	v_or_b32_e32 v42, v3, v43
	v_cndmask_b32_e64 v1, 0, 0x100, s7
	s_and_b32 s5, s5, s34
	v_cmp_lt_i32_e64 s4, v49, v7
	v_cndmask_b32_e64 v2, 0, 0x800, s5
	s_and_b32 s5, s6, s33
	v_or3_b32 v41, v1, v0, v42
	v_cndmask_b32_e64 v3, 0, 0x400, s5
	s_and_b32 s3, s3, s36
	s_and_b32 s1, s1, s38
	v_cndmask_b32_e64 v0, 0, 0x2000, s3
	s_and_b32 s3, s4, s35
	v_or3_b32 v40, v3, v2, v41
	v_cndmask_b32_e64 v1, 0, 0x1000, s3
	v_cndmask_b32_e64 v2, 0, 0x8000, s1
	s_and_b32 s1, s2, s37
	s_cmp_lg_u32 s22, 0
	v_cndmask_b32_e64 v3, 0, 0x4000, s1
	v_or3_b32 v39, v1, v0, v40
	s_barrier
	buffer_gl0_inv
	v_or3_b32 v38, v3, v2, v39
	s_delay_alu instid0(VALU_DEP_1)
	v_bcnt_u32_b32 v8, v38, 0
	s_cbranch_scc0 .LBB25_193
; %bb.132:
	v_mbcnt_lo_u32_b32 v44, -1, 0
	s_delay_alu instid0(VALU_DEP_2)
	v_mov_b32_dpp v6, v8 row_shr:1 row_mask:0xf bank_mask:0xf
	v_mov_b32_dpp v5, v9 row_shr:1 row_mask:0xf bank_mask:0xf
	v_mov_b32_e32 v2, v9
	v_dual_mov_b32 v0, v8 :: v_dual_mov_b32 v1, v9
	v_dual_mov_b32 v3, v8 :: v_dual_and_b32 v4, 15, v44
	s_mov_b32 s1, exec_lo
	s_delay_alu instid0(VALU_DEP_1)
	v_cmpx_ne_u32_e32 0, v4
; %bb.133:
	v_add_co_u32 v3, s2, v6, v8
	s_delay_alu instid0(VALU_DEP_1) | instskip(NEXT) | instid1(VALU_DEP_2)
	v_add_co_ci_u32_e64 v0, null, 0, 0, s2
	v_add_co_u32 v1, vcc_lo, 0, v3
	s_delay_alu instid0(VALU_DEP_2) | instskip(NEXT) | instid1(VALU_DEP_2)
	v_add_co_ci_u32_e32 v2, vcc_lo, v5, v0, vcc_lo
	v_mov_b32_e32 v0, v1
	s_delay_alu instid0(VALU_DEP_2)
	v_mov_b32_e32 v1, v2
; %bb.134:
	s_or_b32 exec_lo, exec_lo, s1
	v_mov_b32_dpp v6, v3 row_shr:2 row_mask:0xf bank_mask:0xf
	v_mov_b32_dpp v5, v2 row_shr:2 row_mask:0xf bank_mask:0xf
	s_mov_b32 s1, exec_lo
	v_cmpx_lt_u32_e32 1, v4
; %bb.135:
	s_delay_alu instid0(VALU_DEP_3) | instskip(SKIP_1) | instid1(VALU_DEP_2)
	v_add_co_u32 v3, vcc_lo, v0, v6
	v_add_co_ci_u32_e32 v0, vcc_lo, 0, v1, vcc_lo
	v_add_co_u32 v1, vcc_lo, 0, v3
	s_delay_alu instid0(VALU_DEP_2) | instskip(NEXT) | instid1(VALU_DEP_2)
	v_add_co_ci_u32_e32 v2, vcc_lo, v5, v0, vcc_lo
	v_mov_b32_e32 v0, v1
	s_delay_alu instid0(VALU_DEP_2)
	v_mov_b32_e32 v1, v2
; %bb.136:
	s_or_b32 exec_lo, exec_lo, s1
	v_mov_b32_dpp v6, v3 row_shr:4 row_mask:0xf bank_mask:0xf
	v_mov_b32_dpp v5, v2 row_shr:4 row_mask:0xf bank_mask:0xf
	s_mov_b32 s1, exec_lo
	v_cmpx_lt_u32_e32 3, v4
; %bb.137:
	s_delay_alu instid0(VALU_DEP_3) | instskip(SKIP_1) | instid1(VALU_DEP_2)
	v_add_co_u32 v3, vcc_lo, v0, v6
	v_add_co_ci_u32_e32 v0, vcc_lo, 0, v1, vcc_lo
	;; [unrolled: 16-line block ×3, first 2 shown]
	v_add_co_u32 v0, vcc_lo, 0, v3
	s_delay_alu instid0(VALU_DEP_2) | instskip(NEXT) | instid1(VALU_DEP_1)
	v_add_co_ci_u32_e32 v1, vcc_lo, v5, v1, vcc_lo
	v_mov_b32_e32 v2, v1
; %bb.140:
	s_or_b32 exec_lo, exec_lo, s1
	ds_swizzle_b32 v4, v3 offset:swizzle(BROADCAST,32,15)
	ds_swizzle_b32 v2, v2 offset:swizzle(BROADCAST,32,15)
	v_and_b32_e32 v5, 16, v44
	s_mov_b32 s1, exec_lo
	s_delay_alu instid0(VALU_DEP_1)
	v_cmpx_ne_u32_e32 0, v5
	s_cbranch_execz .LBB25_142
; %bb.141:
	s_waitcnt lgkmcnt(1)
	v_add_co_u32 v3, vcc_lo, v0, v4
	v_add_co_ci_u32_e32 v1, vcc_lo, 0, v1, vcc_lo
	s_delay_alu instid0(VALU_DEP_2) | instskip(SKIP_1) | instid1(VALU_DEP_2)
	v_add_co_u32 v0, vcc_lo, 0, v3
	s_waitcnt lgkmcnt(0)
	v_add_co_ci_u32_e32 v1, vcc_lo, v2, v1, vcc_lo
.LBB25_142:
	s_or_b32 exec_lo, exec_lo, s1
	s_waitcnt lgkmcnt(0)
	v_and_b32_e32 v2, 0x3e0, v16
	v_lshrrev_b32_e32 v4, 5, v16
	s_delay_alu instid0(VALU_DEP_2) | instskip(NEXT) | instid1(VALU_DEP_1)
	v_min_u32_e32 v2, 0xe0, v2
	v_or_b32_e32 v2, 31, v2
	s_delay_alu instid0(VALU_DEP_1) | instskip(NEXT) | instid1(VALU_DEP_4)
	v_cmp_eq_u32_e32 vcc_lo, v2, v16
	v_lshlrev_b32_e32 v2, 3, v4
	s_and_saveexec_b32 s1, vcc_lo
	s_cbranch_execz .LBB25_144
; %bb.143:
	ds_store_b64 v2, v[0:1] offset:18432
.LBB25_144:
	s_or_b32 exec_lo, exec_lo, s1
	s_delay_alu instid0(SALU_CYCLE_1)
	s_mov_b32 s1, exec_lo
	s_waitcnt lgkmcnt(0)
	s_barrier
	buffer_gl0_inv
	v_cmpx_gt_u32_e32 8, v16
	s_cbranch_execz .LBB25_152
; %bb.145:
	v_lshlrev_b32_e32 v5, 3, v16
	v_and_b32_e32 v4, 7, v44
	s_mov_b32 s2, exec_lo
	ds_load_b64 v[0:1], v5 offset:18432
	s_waitcnt lgkmcnt(0)
	v_mov_b32_e32 v6, v0
	v_mov_b32_dpp v10, v0 row_shr:1 row_mask:0xf bank_mask:0xf
	v_mov_b32_dpp v7, v1 row_shr:1 row_mask:0xf bank_mask:0xf
	v_cmpx_ne_u32_e32 0, v4
; %bb.146:
	s_delay_alu instid0(VALU_DEP_3) | instskip(SKIP_1) | instid1(VALU_DEP_2)
	v_add_co_u32 v6, vcc_lo, v0, v10
	v_add_co_ci_u32_e32 v1, vcc_lo, 0, v1, vcc_lo
	v_add_co_u32 v0, vcc_lo, 0, v6
	s_delay_alu instid0(VALU_DEP_2)
	v_add_co_ci_u32_e32 v1, vcc_lo, v7, v1, vcc_lo
; %bb.147:
	s_or_b32 exec_lo, exec_lo, s2
	v_mov_b32_dpp v10, v6 row_shr:2 row_mask:0xf bank_mask:0xf
	s_delay_alu instid0(VALU_DEP_2)
	v_mov_b32_dpp v7, v1 row_shr:2 row_mask:0xf bank_mask:0xf
	s_mov_b32 s2, exec_lo
	v_cmpx_lt_u32_e32 1, v4
; %bb.148:
	s_delay_alu instid0(VALU_DEP_3) | instskip(SKIP_1) | instid1(VALU_DEP_2)
	v_add_co_u32 v6, vcc_lo, v0, v10
	v_add_co_ci_u32_e32 v1, vcc_lo, 0, v1, vcc_lo
	v_add_co_u32 v0, vcc_lo, 0, v6
	s_delay_alu instid0(VALU_DEP_2)
	v_add_co_ci_u32_e32 v1, vcc_lo, v7, v1, vcc_lo
; %bb.149:
	s_or_b32 exec_lo, exec_lo, s2
	v_add_nc_u32_e32 v5, 0x4800, v5
	v_mov_b32_dpp v7, v6 row_shr:4 row_mask:0xf bank_mask:0xf
	s_delay_alu instid0(VALU_DEP_3)
	v_mov_b32_dpp v6, v1 row_shr:4 row_mask:0xf bank_mask:0xf
	s_mov_b32 s2, exec_lo
	v_cmpx_lt_u32_e32 3, v4
; %bb.150:
	s_delay_alu instid0(VALU_DEP_3) | instskip(SKIP_1) | instid1(VALU_DEP_2)
	v_add_co_u32 v0, vcc_lo, v0, v7
	v_add_co_ci_u32_e32 v1, vcc_lo, 0, v1, vcc_lo
	v_add_co_u32 v0, vcc_lo, v0, 0
	s_delay_alu instid0(VALU_DEP_2)
	v_add_co_ci_u32_e32 v1, vcc_lo, v1, v6, vcc_lo
; %bb.151:
	s_or_b32 exec_lo, exec_lo, s2
	ds_store_b64 v5, v[0:1]
.LBB25_152:
	s_or_b32 exec_lo, exec_lo, s1
	v_cmp_gt_u32_e32 vcc_lo, 32, v16
	s_mov_b32 s2, exec_lo
	s_waitcnt lgkmcnt(0)
	s_barrier
	buffer_gl0_inv
                                        ; implicit-def: $vgpr10_vgpr11
	v_cmpx_lt_u32_e32 31, v16
	s_cbranch_execz .LBB25_154
; %bb.153:
	ds_load_b64 v[10:11], v2 offset:18424
	s_waitcnt lgkmcnt(0)
	v_add_nc_u32_e32 v3, v3, v10
.LBB25_154:
	s_or_b32 exec_lo, exec_lo, s2
	v_add_nc_u32_e32 v0, -1, v44
	s_delay_alu instid0(VALU_DEP_1) | instskip(NEXT) | instid1(VALU_DEP_1)
	v_cmp_gt_i32_e64 s1, 0, v0
	v_cndmask_b32_e64 v0, v0, v44, s1
	v_cmp_eq_u32_e64 s1, 0, v44
	s_delay_alu instid0(VALU_DEP_2)
	v_lshlrev_b32_e32 v0, 2, v0
	ds_bpermute_b32 v45, v0, v3
	s_and_saveexec_b32 s2, vcc_lo
	s_cbranch_execz .LBB25_192
; %bb.155:
	v_mov_b32_e32 v3, 0
	ds_load_b64 v[0:1], v3 offset:18488
	s_and_saveexec_b32 s3, s1
	s_cbranch_execz .LBB25_157
; %bb.156:
	s_add_i32 s4, s22, 32
	s_mov_b32 s5, 0
	s_delay_alu instid0(SALU_CYCLE_1) | instskip(NEXT) | instid1(SALU_CYCLE_1)
	s_lshl_b64 s[4:5], s[4:5], 4
	s_add_u32 s4, s20, s4
	s_addc_u32 s5, s21, s5
	v_mov_b32_e32 v4, s4
	v_dual_mov_b32 v2, 1 :: v_dual_mov_b32 v5, s5
	s_waitcnt lgkmcnt(0)
	;;#ASMSTART
	global_store_dwordx4 v[4:5], v[0:3] off	
s_waitcnt vmcnt(0)
	;;#ASMEND
.LBB25_157:
	s_or_b32 exec_lo, exec_lo, s3
	v_xad_u32 v11, v44, -1, s22
	s_mov_b32 s4, 0
	s_mov_b32 s3, exec_lo
	s_delay_alu instid0(VALU_DEP_1) | instskip(NEXT) | instid1(VALU_DEP_1)
	v_add_nc_u32_e32 v2, 32, v11
	v_lshlrev_b64 v[2:3], 4, v[2:3]
	s_delay_alu instid0(VALU_DEP_1) | instskip(NEXT) | instid1(VALU_DEP_2)
	v_add_co_u32 v2, vcc_lo, s20, v2
	v_add_co_ci_u32_e32 v3, vcc_lo, s21, v3, vcc_lo
	;;#ASMSTART
	global_load_dwordx4 v[4:7], v[2:3] off glc	
s_waitcnt vmcnt(0)
	;;#ASMEND
	v_and_b32_e32 v7, 0xff, v5
	v_and_b32_e32 v12, 0xff00, v5
	;; [unrolled: 1-line block ×3, first 2 shown]
	v_or3_b32 v4, v4, 0, 0
	v_and_b32_e32 v5, 0xff000000, v5
	s_delay_alu instid0(VALU_DEP_4) | instskip(SKIP_1) | instid1(VALU_DEP_4)
	v_or3_b32 v7, 0, v7, v12
	v_and_b32_e32 v12, 0xff, v6
	v_or3_b32 v4, v4, 0, 0
	s_delay_alu instid0(VALU_DEP_3) | instskip(NEXT) | instid1(VALU_DEP_3)
	v_or3_b32 v5, v7, v13, v5
	v_cmpx_eq_u16_e32 0, v12
	s_cbranch_execz .LBB25_160
.LBB25_158:                             ; =>This Inner Loop Header: Depth=1
	;;#ASMSTART
	global_load_dwordx4 v[4:7], v[2:3] off glc	
s_waitcnt vmcnt(0)
	;;#ASMEND
	v_and_b32_e32 v7, 0xff, v6
	s_delay_alu instid0(VALU_DEP_1) | instskip(SKIP_1) | instid1(SALU_CYCLE_1)
	v_cmp_ne_u16_e32 vcc_lo, 0, v7
	s_or_b32 s4, vcc_lo, s4
	s_and_not1_b32 exec_lo, exec_lo, s4
	s_cbranch_execnz .LBB25_158
; %bb.159:
	s_or_b32 exec_lo, exec_lo, s4
.LBB25_160:
	s_delay_alu instid0(SALU_CYCLE_1)
	s_or_b32 exec_lo, exec_lo, s3
	v_cmp_ne_u32_e32 vcc_lo, 31, v44
	v_and_b32_e32 v3, 0xff, v6
	v_lshlrev_b32_e64 v47, v44, -1
	s_mov_b32 s3, exec_lo
	v_add_co_ci_u32_e32 v2, vcc_lo, 0, v44, vcc_lo
	s_delay_alu instid0(VALU_DEP_3) | instskip(NEXT) | instid1(VALU_DEP_2)
	v_cmp_eq_u16_e32 vcc_lo, 2, v3
	v_dual_mov_b32 v3, v4 :: v_dual_lshlrev_b32 v46, 2, v2
	v_and_or_b32 v2, vcc_lo, v47, 0x80000000
	ds_bpermute_b32 v12, v46, v4
	ds_bpermute_b32 v7, v46, v5
	v_ctz_i32_b32_e32 v2, v2
	s_delay_alu instid0(VALU_DEP_1)
	v_cmpx_lt_u32_e64 v44, v2
	s_cbranch_execz .LBB25_162
; %bb.161:
	s_waitcnt lgkmcnt(1)
	v_add_co_u32 v3, vcc_lo, v4, v12
	v_add_co_ci_u32_e32 v5, vcc_lo, 0, v5, vcc_lo
	s_delay_alu instid0(VALU_DEP_2) | instskip(SKIP_1) | instid1(VALU_DEP_2)
	v_add_co_u32 v4, vcc_lo, 0, v3
	s_waitcnt lgkmcnt(0)
	v_add_co_ci_u32_e32 v5, vcc_lo, v7, v5, vcc_lo
.LBB25_162:
	s_or_b32 exec_lo, exec_lo, s3
	v_cmp_gt_u32_e32 vcc_lo, 30, v44
	v_add_nc_u32_e32 v49, 2, v44
	s_mov_b32 s3, exec_lo
	s_waitcnt lgkmcnt(0)
	v_cndmask_b32_e64 v7, 0, 1, vcc_lo
	s_delay_alu instid0(VALU_DEP_1) | instskip(NEXT) | instid1(VALU_DEP_1)
	v_lshlrev_b32_e32 v7, 1, v7
	v_add_lshl_u32 v48, v7, v44, 2
	ds_bpermute_b32 v12, v48, v3
	ds_bpermute_b32 v7, v48, v5
	v_cmpx_le_u32_e64 v49, v2
	s_cbranch_execz .LBB25_164
; %bb.163:
	s_waitcnt lgkmcnt(1)
	v_add_co_u32 v3, vcc_lo, v4, v12
	v_add_co_ci_u32_e32 v5, vcc_lo, 0, v5, vcc_lo
	s_delay_alu instid0(VALU_DEP_2) | instskip(SKIP_1) | instid1(VALU_DEP_2)
	v_add_co_u32 v4, vcc_lo, 0, v3
	s_waitcnt lgkmcnt(0)
	v_add_co_ci_u32_e32 v5, vcc_lo, v7, v5, vcc_lo
.LBB25_164:
	s_or_b32 exec_lo, exec_lo, s3
	v_cmp_gt_u32_e32 vcc_lo, 28, v44
	v_add_nc_u32_e32 v51, 4, v44
	s_mov_b32 s3, exec_lo
	s_waitcnt lgkmcnt(0)
	v_cndmask_b32_e64 v7, 0, 1, vcc_lo
	s_delay_alu instid0(VALU_DEP_1) | instskip(NEXT) | instid1(VALU_DEP_1)
	v_lshlrev_b32_e32 v7, 2, v7
	v_add_lshl_u32 v50, v7, v44, 2
	ds_bpermute_b32 v12, v50, v3
	ds_bpermute_b32 v7, v50, v5
	v_cmpx_le_u32_e64 v51, v2
	;; [unrolled: 22-line block ×4, first 2 shown]
	s_cbranch_execz .LBB25_170
; %bb.169:
	s_waitcnt lgkmcnt(1)
	v_add_co_u32 v2, vcc_lo, v4, v7
	v_add_co_ci_u32_e32 v5, vcc_lo, 0, v5, vcc_lo
	s_delay_alu instid0(VALU_DEP_2) | instskip(SKIP_1) | instid1(VALU_DEP_2)
	v_add_co_u32 v4, vcc_lo, v2, 0
	s_waitcnt lgkmcnt(0)
	v_add_co_ci_u32_e32 v5, vcc_lo, v5, v3, vcc_lo
.LBB25_170:
	s_or_b32 exec_lo, exec_lo, s3
	v_mov_b32_e32 v12, 0
	s_branch .LBB25_172
.LBB25_171:                             ;   in Loop: Header=BB25_172 Depth=1
	s_or_b32 exec_lo, exec_lo, s3
	v_add_co_u32 v4, vcc_lo, v4, v2
	v_subrev_nc_u32_e32 v11, 32, v11
	v_add_co_ci_u32_e32 v5, vcc_lo, v5, v3, vcc_lo
.LBB25_172:                             ; =>This Loop Header: Depth=1
                                        ;     Child Loop BB25_175 Depth 2
	v_and_b32_e32 v2, 0xff, v6
	s_delay_alu instid0(VALU_DEP_1) | instskip(SKIP_2) | instid1(VALU_DEP_1)
	v_cmp_ne_u16_e32 vcc_lo, 2, v2
	v_cndmask_b32_e64 v2, 0, 1, vcc_lo
	;;#ASMSTART
	;;#ASMEND
	v_cmp_ne_u32_e32 vcc_lo, 0, v2
	s_waitcnt lgkmcnt(0)
	v_dual_mov_b32 v2, v4 :: v_dual_mov_b32 v3, v5
	s_cmp_lg_u32 vcc_lo, exec_lo
	s_cbranch_scc1 .LBB25_187
; %bb.173:                              ;   in Loop: Header=BB25_172 Depth=1
	v_lshlrev_b64 v[4:5], 4, v[11:12]
	s_mov_b32 s3, exec_lo
	s_delay_alu instid0(VALU_DEP_1) | instskip(NEXT) | instid1(VALU_DEP_2)
	v_add_co_u32 v13, vcc_lo, s20, v4
	v_add_co_ci_u32_e32 v14, vcc_lo, s21, v5, vcc_lo
	;;#ASMSTART
	global_load_dwordx4 v[4:7], v[13:14] off glc	
s_waitcnt vmcnt(0)
	;;#ASMEND
	v_and_b32_e32 v7, 0xff, v5
	v_and_b32_e32 v56, 0xff00, v5
	;; [unrolled: 1-line block ×3, first 2 shown]
	v_or3_b32 v4, v4, 0, 0
	v_and_b32_e32 v5, 0xff000000, v5
	s_delay_alu instid0(VALU_DEP_4) | instskip(SKIP_1) | instid1(VALU_DEP_4)
	v_or3_b32 v7, 0, v7, v56
	v_and_b32_e32 v56, 0xff, v6
	v_or3_b32 v4, v4, 0, 0
	s_delay_alu instid0(VALU_DEP_3) | instskip(NEXT) | instid1(VALU_DEP_3)
	v_or3_b32 v5, v7, v57, v5
	v_cmpx_eq_u16_e32 0, v56
	s_cbranch_execz .LBB25_177
; %bb.174:                              ;   in Loop: Header=BB25_172 Depth=1
	s_mov_b32 s4, 0
.LBB25_175:                             ;   Parent Loop BB25_172 Depth=1
                                        ; =>  This Inner Loop Header: Depth=2
	;;#ASMSTART
	global_load_dwordx4 v[4:7], v[13:14] off glc	
s_waitcnt vmcnt(0)
	;;#ASMEND
	v_and_b32_e32 v7, 0xff, v6
	s_delay_alu instid0(VALU_DEP_1) | instskip(SKIP_1) | instid1(SALU_CYCLE_1)
	v_cmp_ne_u16_e32 vcc_lo, 0, v7
	s_or_b32 s4, vcc_lo, s4
	s_and_not1_b32 exec_lo, exec_lo, s4
	s_cbranch_execnz .LBB25_175
; %bb.176:                              ;   in Loop: Header=BB25_172 Depth=1
	s_or_b32 exec_lo, exec_lo, s4
.LBB25_177:                             ;   in Loop: Header=BB25_172 Depth=1
	s_delay_alu instid0(SALU_CYCLE_1)
	s_or_b32 exec_lo, exec_lo, s3
	v_and_b32_e32 v7, 0xff, v6
	ds_bpermute_b32 v56, v46, v4
	ds_bpermute_b32 v14, v46, v5
	v_mov_b32_e32 v13, v4
	s_mov_b32 s3, exec_lo
	v_cmp_eq_u16_e32 vcc_lo, 2, v7
	v_and_or_b32 v7, vcc_lo, v47, 0x80000000
	s_delay_alu instid0(VALU_DEP_1) | instskip(NEXT) | instid1(VALU_DEP_1)
	v_ctz_i32_b32_e32 v7, v7
	v_cmpx_lt_u32_e64 v44, v7
	s_cbranch_execz .LBB25_179
; %bb.178:                              ;   in Loop: Header=BB25_172 Depth=1
	s_waitcnt lgkmcnt(1)
	v_add_co_u32 v13, vcc_lo, v4, v56
	v_add_co_ci_u32_e32 v5, vcc_lo, 0, v5, vcc_lo
	s_delay_alu instid0(VALU_DEP_2) | instskip(SKIP_1) | instid1(VALU_DEP_2)
	v_add_co_u32 v4, vcc_lo, 0, v13
	s_waitcnt lgkmcnt(0)
	v_add_co_ci_u32_e32 v5, vcc_lo, v14, v5, vcc_lo
.LBB25_179:                             ;   in Loop: Header=BB25_172 Depth=1
	s_or_b32 exec_lo, exec_lo, s3
	s_waitcnt lgkmcnt(1)
	ds_bpermute_b32 v56, v48, v13
	s_waitcnt lgkmcnt(1)
	ds_bpermute_b32 v14, v48, v5
	s_mov_b32 s3, exec_lo
	v_cmpx_le_u32_e64 v49, v7
	s_cbranch_execz .LBB25_181
; %bb.180:                              ;   in Loop: Header=BB25_172 Depth=1
	s_waitcnt lgkmcnt(1)
	v_add_co_u32 v13, vcc_lo, v4, v56
	v_add_co_ci_u32_e32 v5, vcc_lo, 0, v5, vcc_lo
	s_delay_alu instid0(VALU_DEP_2) | instskip(SKIP_1) | instid1(VALU_DEP_2)
	v_add_co_u32 v4, vcc_lo, 0, v13
	s_waitcnt lgkmcnt(0)
	v_add_co_ci_u32_e32 v5, vcc_lo, v14, v5, vcc_lo
.LBB25_181:                             ;   in Loop: Header=BB25_172 Depth=1
	s_or_b32 exec_lo, exec_lo, s3
	s_waitcnt lgkmcnt(1)
	ds_bpermute_b32 v56, v50, v13
	s_waitcnt lgkmcnt(1)
	ds_bpermute_b32 v14, v50, v5
	s_mov_b32 s3, exec_lo
	v_cmpx_le_u32_e64 v51, v7
	;; [unrolled: 17-line block ×3, first 2 shown]
	s_cbranch_execz .LBB25_185
; %bb.184:                              ;   in Loop: Header=BB25_172 Depth=1
	s_waitcnt lgkmcnt(1)
	v_add_co_u32 v13, vcc_lo, v4, v56
	v_add_co_ci_u32_e32 v5, vcc_lo, 0, v5, vcc_lo
	s_delay_alu instid0(VALU_DEP_2) | instskip(SKIP_1) | instid1(VALU_DEP_2)
	v_add_co_u32 v4, vcc_lo, 0, v13
	s_waitcnt lgkmcnt(0)
	v_add_co_ci_u32_e32 v5, vcc_lo, v14, v5, vcc_lo
.LBB25_185:                             ;   in Loop: Header=BB25_172 Depth=1
	s_or_b32 exec_lo, exec_lo, s3
	s_waitcnt lgkmcnt(0)
	ds_bpermute_b32 v14, v54, v13
	ds_bpermute_b32 v13, v54, v5
	s_mov_b32 s3, exec_lo
	v_cmpx_le_u32_e64 v55, v7
	s_cbranch_execz .LBB25_171
; %bb.186:                              ;   in Loop: Header=BB25_172 Depth=1
	s_waitcnt lgkmcnt(1)
	v_add_co_u32 v4, vcc_lo, v4, v14
	v_add_co_ci_u32_e32 v5, vcc_lo, 0, v5, vcc_lo
	s_delay_alu instid0(VALU_DEP_2) | instskip(SKIP_1) | instid1(VALU_DEP_2)
	v_add_co_u32 v4, vcc_lo, v4, 0
	s_waitcnt lgkmcnt(0)
	v_add_co_ci_u32_e32 v5, vcc_lo, v5, v13, vcc_lo
	s_branch .LBB25_171
.LBB25_187:                             ;   in Loop: Header=BB25_172 Depth=1
                                        ; implicit-def: $vgpr4_vgpr5
	s_cbranch_execz .LBB25_172
; %bb.188:
	s_and_saveexec_b32 s3, s1
	s_cbranch_execz .LBB25_190
; %bb.189:
	s_add_i32 s4, s22, 32
	s_mov_b32 s5, 0
	v_add_co_u32 v4, vcc_lo, v2, v0
	s_lshl_b64 s[4:5], s[4:5], 4
	v_dual_mov_b32 v6, 2 :: v_dual_mov_b32 v7, 0
	s_add_u32 s4, s20, s4
	s_addc_u32 s5, s21, s5
	v_add_co_ci_u32_e32 v5, vcc_lo, v3, v1, vcc_lo
	v_dual_mov_b32 v12, s5 :: v_dual_mov_b32 v11, s4
	;;#ASMSTART
	global_store_dwordx4 v[11:12], v[4:7] off	
s_waitcnt vmcnt(0)
	;;#ASMEND
	ds_store_b128 v7, v[0:3] offset:18496
.LBB25_190:
	s_or_b32 exec_lo, exec_lo, s3
	s_delay_alu instid0(SALU_CYCLE_1)
	s_and_b32 exec_lo, exec_lo, s0
	s_cbranch_execz .LBB25_192
; %bb.191:
	v_mov_b32_e32 v0, 0
	ds_store_b64 v0, v[2:3] offset:18488
.LBB25_192:
	s_or_b32 exec_lo, exec_lo, s2
	v_mov_b32_e32 v0, 0
	s_waitcnt lgkmcnt(0)
	s_barrier
	buffer_gl0_inv
	ds_load_b64 v[2:3], v0 offset:18488
	s_waitcnt lgkmcnt(0)
	s_barrier
	buffer_gl0_inv
	ds_load_b64 v[0:1], v0 offset:18504
	v_cndmask_b32_e64 v3, v45, v10, s1
	s_movk_i32 s1, 0x4840
	s_delay_alu instid0(VALU_DEP_1) | instskip(NEXT) | instid1(VALU_DEP_1)
	v_cndmask_b32_e64 v3, v3, 0, s0
	v_add_co_u32 v4, vcc_lo, v2, v3
	s_branch .LBB25_217
.LBB25_193:
                                        ; implicit-def: $vgpr0_vgpr1
                                        ; implicit-def: $sgpr1
                                        ; implicit-def: $vgpr4_vgpr5
	s_cbranch_execz .LBB25_217
; %bb.194:
	v_mbcnt_lo_u32_b32 v4, -1, 0
	v_mov_b32_e32 v2, 0
	v_mov_b32_dpp v6, v8 row_shr:1 row_mask:0xf bank_mask:0xf
	s_waitcnt lgkmcnt(0)
	v_dual_mov_b32 v0, v8 :: v_dual_mov_b32 v1, v9
	v_and_b32_e32 v3, 15, v4
	v_mov_b32_dpp v5, v2 row_shr:1 row_mask:0xf bank_mask:0xf
	s_mov_b32 s1, exec_lo
	s_delay_alu instid0(VALU_DEP_2)
	v_cmpx_ne_u32_e32 0, v3
; %bb.195:
	v_add_co_u32 v8, s2, v6, v8
	s_delay_alu instid0(VALU_DEP_1) | instskip(NEXT) | instid1(VALU_DEP_2)
	v_add_co_ci_u32_e64 v0, null, 0, 0, s2
	v_add_co_u32 v1, vcc_lo, 0, v8
	s_delay_alu instid0(VALU_DEP_2) | instskip(NEXT) | instid1(VALU_DEP_2)
	v_add_co_ci_u32_e32 v2, vcc_lo, v5, v0, vcc_lo
	v_mov_b32_e32 v0, v1
	s_delay_alu instid0(VALU_DEP_2)
	v_mov_b32_e32 v1, v2
; %bb.196:
	s_or_b32 exec_lo, exec_lo, s1
	v_mov_b32_dpp v6, v8 row_shr:2 row_mask:0xf bank_mask:0xf
	v_mov_b32_dpp v5, v2 row_shr:2 row_mask:0xf bank_mask:0xf
	s_mov_b32 s1, exec_lo
	v_cmpx_lt_u32_e32 1, v3
; %bb.197:
	s_delay_alu instid0(VALU_DEP_3) | instskip(SKIP_1) | instid1(VALU_DEP_2)
	v_add_co_u32 v8, vcc_lo, v0, v6
	v_add_co_ci_u32_e32 v0, vcc_lo, 0, v1, vcc_lo
	v_add_co_u32 v1, vcc_lo, 0, v8
	s_delay_alu instid0(VALU_DEP_2) | instskip(NEXT) | instid1(VALU_DEP_2)
	v_add_co_ci_u32_e32 v2, vcc_lo, v5, v0, vcc_lo
	v_mov_b32_e32 v0, v1
	s_delay_alu instid0(VALU_DEP_2)
	v_mov_b32_e32 v1, v2
; %bb.198:
	s_or_b32 exec_lo, exec_lo, s1
	v_mov_b32_dpp v6, v8 row_shr:4 row_mask:0xf bank_mask:0xf
	v_mov_b32_dpp v5, v2 row_shr:4 row_mask:0xf bank_mask:0xf
	s_mov_b32 s1, exec_lo
	v_cmpx_lt_u32_e32 3, v3
; %bb.199:
	s_delay_alu instid0(VALU_DEP_3) | instskip(SKIP_1) | instid1(VALU_DEP_2)
	v_add_co_u32 v8, vcc_lo, v0, v6
	v_add_co_ci_u32_e32 v0, vcc_lo, 0, v1, vcc_lo
	;; [unrolled: 16-line block ×3, first 2 shown]
	v_add_co_u32 v0, vcc_lo, 0, v8
	s_delay_alu instid0(VALU_DEP_2) | instskip(NEXT) | instid1(VALU_DEP_1)
	v_add_co_ci_u32_e32 v1, vcc_lo, v5, v1, vcc_lo
	v_mov_b32_e32 v2, v1
; %bb.202:
	s_or_b32 exec_lo, exec_lo, s1
	ds_swizzle_b32 v3, v8 offset:swizzle(BROADCAST,32,15)
	ds_swizzle_b32 v2, v2 offset:swizzle(BROADCAST,32,15)
	v_and_b32_e32 v5, 16, v4
	s_mov_b32 s1, exec_lo
	s_delay_alu instid0(VALU_DEP_1)
	v_cmpx_ne_u32_e32 0, v5
	s_cbranch_execz .LBB25_204
; %bb.203:
	s_waitcnt lgkmcnt(1)
	v_add_co_u32 v8, vcc_lo, v0, v3
	v_add_co_ci_u32_e32 v1, vcc_lo, 0, v1, vcc_lo
	s_delay_alu instid0(VALU_DEP_2) | instskip(SKIP_1) | instid1(VALU_DEP_2)
	v_add_co_u32 v0, vcc_lo, 0, v8
	s_waitcnt lgkmcnt(0)
	v_add_co_ci_u32_e32 v1, vcc_lo, v2, v1, vcc_lo
.LBB25_204:
	s_or_b32 exec_lo, exec_lo, s1
	s_waitcnt lgkmcnt(0)
	v_and_b32_e32 v2, 0x3e0, v16
	v_lshrrev_b32_e32 v3, 5, v16
	s_mov_b32 s1, exec_lo
	s_delay_alu instid0(VALU_DEP_2) | instskip(NEXT) | instid1(VALU_DEP_2)
	v_min_u32_e32 v2, 0xe0, v2
	v_lshlrev_b32_e32 v5, 3, v3
	s_delay_alu instid0(VALU_DEP_2) | instskip(NEXT) | instid1(VALU_DEP_1)
	v_or_b32_e32 v2, 31, v2
	v_cmpx_eq_u32_e64 v2, v16
	s_cbranch_execz .LBB25_206
; %bb.205:
	ds_store_b64 v5, v[0:1] offset:18432
.LBB25_206:
	s_or_b32 exec_lo, exec_lo, s1
	s_delay_alu instid0(SALU_CYCLE_1)
	s_mov_b32 s1, exec_lo
	s_waitcnt lgkmcnt(0)
	s_barrier
	buffer_gl0_inv
	v_cmpx_gt_u32_e32 8, v16
	s_cbranch_execz .LBB25_214
; %bb.207:
	v_lshlrev_b32_e32 v3, 3, v16
	v_and_b32_e32 v2, 7, v4
	s_mov_b32 s2, exec_lo
	ds_load_b64 v[0:1], v3 offset:18432
	s_waitcnt lgkmcnt(0)
	v_mov_b32_e32 v6, v0
	v_mov_b32_dpp v9, v0 row_shr:1 row_mask:0xf bank_mask:0xf
	v_mov_b32_dpp v7, v1 row_shr:1 row_mask:0xf bank_mask:0xf
	v_cmpx_ne_u32_e32 0, v2
; %bb.208:
	s_delay_alu instid0(VALU_DEP_3) | instskip(SKIP_1) | instid1(VALU_DEP_2)
	v_add_co_u32 v6, vcc_lo, v0, v9
	v_add_co_ci_u32_e32 v1, vcc_lo, 0, v1, vcc_lo
	v_add_co_u32 v0, vcc_lo, 0, v6
	s_delay_alu instid0(VALU_DEP_2)
	v_add_co_ci_u32_e32 v1, vcc_lo, v7, v1, vcc_lo
; %bb.209:
	s_or_b32 exec_lo, exec_lo, s2
	v_mov_b32_dpp v9, v6 row_shr:2 row_mask:0xf bank_mask:0xf
	s_delay_alu instid0(VALU_DEP_2)
	v_mov_b32_dpp v7, v1 row_shr:2 row_mask:0xf bank_mask:0xf
	s_mov_b32 s2, exec_lo
	v_cmpx_lt_u32_e32 1, v2
; %bb.210:
	s_delay_alu instid0(VALU_DEP_3) | instskip(SKIP_1) | instid1(VALU_DEP_2)
	v_add_co_u32 v6, vcc_lo, v0, v9
	v_add_co_ci_u32_e32 v1, vcc_lo, 0, v1, vcc_lo
	v_add_co_u32 v0, vcc_lo, 0, v6
	s_delay_alu instid0(VALU_DEP_2)
	v_add_co_ci_u32_e32 v1, vcc_lo, v7, v1, vcc_lo
; %bb.211:
	s_or_b32 exec_lo, exec_lo, s2
	v_add_nc_u32_e32 v3, 0x4800, v3
	v_mov_b32_dpp v7, v6 row_shr:4 row_mask:0xf bank_mask:0xf
	s_delay_alu instid0(VALU_DEP_3)
	v_mov_b32_dpp v6, v1 row_shr:4 row_mask:0xf bank_mask:0xf
	s_mov_b32 s2, exec_lo
	v_cmpx_lt_u32_e32 3, v2
; %bb.212:
	s_delay_alu instid0(VALU_DEP_3) | instskip(SKIP_1) | instid1(VALU_DEP_2)
	v_add_co_u32 v0, vcc_lo, v0, v7
	v_add_co_ci_u32_e32 v1, vcc_lo, 0, v1, vcc_lo
	v_add_co_u32 v0, vcc_lo, v0, 0
	s_delay_alu instid0(VALU_DEP_2)
	v_add_co_ci_u32_e32 v1, vcc_lo, v1, v6, vcc_lo
; %bb.213:
	s_or_b32 exec_lo, exec_lo, s2
	ds_store_b64 v3, v[0:1]
.LBB25_214:
	s_or_b32 exec_lo, exec_lo, s1
	v_mov_b32_e32 v0, 0
	v_mov_b32_e32 v1, 0
	s_mov_b32 s1, exec_lo
	s_waitcnt lgkmcnt(0)
	s_barrier
	buffer_gl0_inv
	v_dual_mov_b32 v3, v1 :: v_dual_mov_b32 v2, v0
	v_cmpx_lt_u32_e32 31, v16
	s_cbranch_execz .LBB25_216
; %bb.215:
	ds_load_b64 v[2:3], v5 offset:18424
.LBB25_216:
	s_or_b32 exec_lo, exec_lo, s1
	s_waitcnt lgkmcnt(0)
	v_add_nc_u32_e32 v3, -1, v4
	v_add_nc_u32_e32 v5, v8, v2
	s_movk_i32 s1, 0x4838
	s_delay_alu instid0(VALU_DEP_2) | instskip(SKIP_2) | instid1(VALU_DEP_2)
	v_cmp_gt_i32_e32 vcc_lo, 0, v3
	v_cndmask_b32_e32 v3, v3, v4, vcc_lo
	v_cmp_eq_u32_e32 vcc_lo, 0, v4
	v_lshlrev_b32_e32 v3, 2, v3
	ds_bpermute_b32 v3, v3, v5
	s_waitcnt lgkmcnt(0)
	v_cndmask_b32_e32 v4, v3, v2, vcc_lo
.LBB25_217:
	v_mov_b32_e32 v2, s1
	s_waitcnt lgkmcnt(0)
	s_delay_alu instid0(VALU_DEP_2)
	v_sub_nc_u32_e32 v4, v4, v0
	ds_load_b64 v[2:3], v2
	s_waitcnt lgkmcnt(0)
	s_barrier
	buffer_gl0_inv
	s_and_saveexec_b32 s1, s14
	s_cbranch_execnz .LBB25_263
; %bb.218:
	s_or_b32 exec_lo, exec_lo, s1
	s_and_saveexec_b32 s1, s12
	s_cbranch_execnz .LBB25_264
.LBB25_219:
	s_or_b32 exec_lo, exec_lo, s1
	s_and_saveexec_b32 s1, s23
	s_cbranch_execnz .LBB25_265
.LBB25_220:
	s_or_b32 exec_lo, exec_lo, s1
	s_and_saveexec_b32 s1, s11
	s_cbranch_execnz .LBB25_266
.LBB25_221:
	s_or_b32 exec_lo, exec_lo, s1
	s_and_saveexec_b32 s1, s10
	s_cbranch_execnz .LBB25_267
.LBB25_222:
	s_or_b32 exec_lo, exec_lo, s1
	s_and_saveexec_b32 s1, s9
	s_cbranch_execz .LBB25_224
.LBB25_223:
	v_lshlrev_b32_e32 v5, 2, v4
	v_add_nc_u32_e32 v4, 1, v4
	ds_store_b32 v5, v27 offset:19456
.LBB25_224:
	s_or_b32 exec_lo, exec_lo, s1
	v_and_b32_e32 v5, 64, v43
	s_mov_b32 s1, exec_lo
	s_delay_alu instid0(VALU_DEP_1)
	v_cmpx_ne_u32_e32 0, v5
	s_cbranch_execz .LBB25_226
; %bb.225:
	v_lshlrev_b32_e32 v5, 2, v4
	v_add_nc_u32_e32 v4, 1, v4
	ds_store_b32 v5, v28 offset:19456
.LBB25_226:
	s_or_b32 exec_lo, exec_lo, s1
	v_and_b32_e32 v5, 0x80, v42
	s_mov_b32 s1, exec_lo
	s_delay_alu instid0(VALU_DEP_1)
	v_cmpx_ne_u32_e32 0, v5
	s_cbranch_execz .LBB25_228
; %bb.227:
	v_lshlrev_b32_e32 v5, 2, v4
	v_add_nc_u32_e32 v4, 1, v4
	ds_store_b32 v5, v29 offset:19456
.LBB25_228:
	;; [unrolled: 11-line block ×9, first 2 shown]
	s_or_b32 exec_lo, exec_lo, s1
	v_and_b32_e32 v5, 0x8000, v38
	s_mov_b32 s1, exec_lo
	s_delay_alu instid0(VALU_DEP_1)
	v_cmpx_ne_u32_e32 0, v5
	s_cbranch_execz .LBB25_244
; %bb.243:
	v_lshlrev_b32_e32 v4, 2, v4
	ds_store_b32 v4, v37 offset:19456
.LBB25_244:
	s_or_b32 exec_lo, exec_lo, s1
	s_delay_alu instid0(SALU_CYCLE_1)
	s_mov_b32 s2, exec_lo
	s_waitcnt lgkmcnt(0)
	s_barrier
	buffer_gl0_inv
	v_cmpx_lt_i32_e64 v16, v2
	s_cbranch_execz .LBB25_247
; %bb.245:
	v_lshlrev_b64 v[4:5], 2, v[0:1]
	v_dual_mov_b32 v7, v16 :: v_dual_add_nc_u32 v6, 0x4c00, v22
	s_mov_b32 s3, 0
	s_delay_alu instid0(VALU_DEP_2) | instskip(NEXT) | instid1(VALU_DEP_3)
	v_add_co_u32 v4, vcc_lo, s16, v4
	v_add_co_ci_u32_e32 v5, vcc_lo, s17, v5, vcc_lo
	s_delay_alu instid0(VALU_DEP_2) | instskip(NEXT) | instid1(VALU_DEP_2)
	v_add_co_u32 v4, vcc_lo, v4, v22
	v_add_co_ci_u32_e32 v5, vcc_lo, 0, v5, vcc_lo
	.p2align	6
.LBB25_246:                             ; =>This Inner Loop Header: Depth=1
	ds_load_b32 v8, v6
	v_add_nc_u32_e32 v7, 0x100, v7
	v_add_nc_u32_e32 v6, 0x400, v6
	s_delay_alu instid0(VALU_DEP_2) | instskip(SKIP_4) | instid1(VALU_DEP_1)
	v_cmp_ge_i32_e32 vcc_lo, v7, v2
	s_or_b32 s3, vcc_lo, s3
	s_waitcnt lgkmcnt(0)
	global_store_b32 v[4:5], v8, off
	v_add_co_u32 v4, s1, 0x400, v4
	v_add_co_ci_u32_e64 v5, s1, 0, v5, s1
	s_and_not1_b32 exec_lo, exec_lo, s3
	s_cbranch_execnz .LBB25_246
.LBB25_247:
	s_or_b32 exec_lo, exec_lo, s2
	s_and_saveexec_b32 s1, s0
	s_cbranch_execz .LBB25_249
; %bb.248:
	v_add_co_u32 v0, vcc_lo, v2, v0
	v_mov_b32_e32 v4, 0
	v_add_co_ci_u32_e32 v1, vcc_lo, v3, v1, vcc_lo
	global_store_b64 v4, v[0:1], s[18:19]
.LBB25_249:
	s_or_b32 exec_lo, exec_lo, s1
	s_mov_b32 s0, 0
.LBB25_250:
	s_delay_alu instid0(SALU_CYCLE_1)
	s_and_b32 vcc_lo, exec_lo, s0
	s_cbranch_vccz .LBB25_470
; %bb.251:
	s_ashr_i32 s0, s15, 31
	v_sub_co_u32 v3, s1, v16, s15
	s_delay_alu instid0(VALU_DEP_1) | instskip(SKIP_3) | instid1(VALU_DEP_4)
	v_sub_co_ci_u32_e64 v4, null, 0, s0, s1
	v_subrev_nc_u32_e32 v0, s15, v16
	v_add_nc_u32_e32 v8, 0x200, v16
	v_or_b32_e32 v13, 0x400, v16
	v_lshlrev_b64 v[3:4], 2, v[3:4]
	v_add_nc_u32_e32 v10, 0x300, v16
	v_ashrrev_i32_e32 v1, 31, v0
	v_add_nc_u32_e32 v14, 0x500, v16
	v_subrev_nc_u32_e32 v9, s15, v13
	v_add_nc_u32_e32 v24, 0x600, v16
	v_add_co_u32 v11, s0, v18, v3
	s_delay_alu instid0(VALU_DEP_1) | instskip(SKIP_3) | instid1(VALU_DEP_3)
	v_add_co_ci_u32_e64 v12, s0, v19, v4, s0
	v_lshlrev_b32_e32 v2, 2, v16
	v_lshlrev_b64 v[5:6], 2, v[0:1]
	v_add_nc_u32_e32 v31, 0xe00, v16
	v_add_co_u32 v0, vcc_lo, v20, v2
	v_add_co_ci_u32_e32 v1, vcc_lo, 0, v21, vcc_lo
	s_delay_alu instid0(VALU_DEP_4) | instskip(SKIP_2) | instid1(VALU_DEP_2)
	v_add_co_u32 v5, vcc_lo, v18, v5
	v_add_co_ci_u32_e32 v6, vcc_lo, v19, v6, vcc_lo
	v_cmp_gt_i32_e32 vcc_lo, s15, v16
	v_dual_cndmask_b32 v4, v6, v1 :: v_dual_add_nc_u32 v7, 0x100, v16
	s_delay_alu instid0(VALU_DEP_4) | instskip(SKIP_1) | instid1(VALU_DEP_3)
	v_cndmask_b32_e32 v3, v5, v0, vcc_lo
	v_cmp_gt_i32_e32 vcc_lo, s15, v8
	v_cmp_gt_i32_e64 s0, s15, v7
	v_dual_cndmask_b32 v8, v12, v1 :: v_dual_cndmask_b32 v7, v11, v0
	v_cmp_gt_i32_e32 vcc_lo, s15, v10
	v_ashrrev_i32_e32 v10, 31, v9
	s_delay_alu instid0(VALU_DEP_4)
	v_cndmask_b32_e64 v6, v12, v1, s0
	v_cndmask_b32_e64 v5, v11, v0, s0
	global_load_b32 v3, v[3:4], off
	global_load_b32 v4, v[5:6], off offset:1024
	global_load_b32 v5, v[7:8], off offset:2048
	v_cndmask_b32_e32 v7, v12, v1, vcc_lo
	v_lshlrev_b32_e32 v12, 2, v13
	v_lshlrev_b64 v[8:9], 2, v[9:10]
	v_subrev_nc_u32_e32 v10, s15, v14
	v_cndmask_b32_e32 v6, v11, v0, vcc_lo
	s_delay_alu instid0(VALU_DEP_4) | instskip(NEXT) | instid1(VALU_DEP_3)
	v_add_co_u32 v15, vcc_lo, v20, v12
	v_ashrrev_i32_e32 v11, 31, v10
	v_add_co_ci_u32_e32 v12, vcc_lo, 0, v21, vcc_lo
	v_add_co_u32 v22, vcc_lo, v18, v8
	v_add_co_ci_u32_e32 v23, vcc_lo, v19, v9, vcc_lo
	s_delay_alu instid0(VALU_DEP_4) | instskip(SKIP_3) | instid1(VALU_DEP_4)
	v_lshlrev_b64 v[8:9], 2, v[10:11]
	v_add_co_u32 v10, s0, 0x1400, v0
	v_cmp_gt_i32_e32 vcc_lo, s15, v13
	v_add_co_ci_u32_e64 v13, s0, 0, v1, s0
	v_add_co_u32 v8, s0, v18, v8
	s_delay_alu instid0(VALU_DEP_1) | instskip(SKIP_3) | instid1(VALU_DEP_3)
	v_add_co_ci_u32_e64 v25, s0, v19, v9, s0
	v_cmp_gt_i32_e64 s0, s15, v14
	v_subrev_nc_u32_e32 v9, s15, v24
	v_dual_cndmask_b32 v12, v23, v12 :: v_dual_cndmask_b32 v11, v22, v15
	v_cndmask_b32_e64 v14, v25, v13, s0
	v_cndmask_b32_e64 v13, v8, v10, s0
	s_delay_alu instid0(VALU_DEP_4)
	v_ashrrev_i32_e32 v10, 31, v9
	global_load_b32 v6, v[6:7], off offset:3072
	global_load_b32 v7, v[11:12], off
	global_load_b32 v8, v[13:14], off
	v_add_co_u32 v13, vcc_lo, 0x1800, v0
	v_lshlrev_b64 v[9:10], 2, v[9:10]
	v_add_co_ci_u32_e32 v14, vcc_lo, 0, v1, vcc_lo
	v_or_b32_e32 v25, 0x800, v16
	s_delay_alu instid0(VALU_DEP_3) | instskip(NEXT) | instid1(VALU_DEP_4)
	v_add_co_u32 v22, vcc_lo, v18, v9
	v_add_co_ci_u32_e32 v23, vcc_lo, v19, v10, vcc_lo
	v_cmp_gt_i32_e32 vcc_lo, s15, v24
	v_add_nc_u32_e32 v15, 0x700, v16
	s_delay_alu instid0(VALU_DEP_1) | instskip(NEXT) | instid1(VALU_DEP_1)
	v_subrev_nc_u32_e32 v11, s15, v15
	v_ashrrev_i32_e32 v12, 31, v11
	s_delay_alu instid0(VALU_DEP_1) | instskip(SKIP_1) | instid1(VALU_DEP_1)
	v_lshlrev_b64 v[9:10], 2, v[11:12]
	v_add_co_u32 v12, s0, 0x1c00, v0
	v_add_co_ci_u32_e64 v24, s0, 0, v1, s0
	v_subrev_nc_u32_e32 v11, s15, v25
	s_delay_alu instid0(VALU_DEP_4) | instskip(NEXT) | instid1(VALU_DEP_1)
	v_add_co_u32 v26, s0, v18, v9
	v_add_co_ci_u32_e64 v27, s0, v19, v10, s0
	v_cndmask_b32_e32 v10, v23, v14, vcc_lo
	v_cmp_gt_i32_e64 s0, s15, v15
	v_cndmask_b32_e32 v9, v22, v13, vcc_lo
	v_lshlrev_b32_e32 v22, 2, v25
	s_delay_alu instid0(VALU_DEP_3) | instskip(SKIP_1) | instid1(VALU_DEP_3)
	v_cndmask_b32_e64 v13, v26, v12, s0
	v_ashrrev_i32_e32 v12, 31, v11
	v_add_co_u32 v22, vcc_lo, v20, v22
	v_add_co_ci_u32_e32 v23, vcc_lo, 0, v21, vcc_lo
	s_delay_alu instid0(VALU_DEP_3)
	v_lshlrev_b64 v[11:12], 2, v[11:12]
	v_cndmask_b32_e64 v14, v27, v24, s0
	global_load_b32 v9, v[9:10], off
	v_add_nc_u32_e32 v27, 0xa00, v16
	v_add_co_u32 v24, vcc_lo, v18, v11
	v_add_co_ci_u32_e32 v26, vcc_lo, v19, v12, vcc_lo
	v_cmp_gt_i32_e32 vcc_lo, s15, v25
	v_add_nc_u32_e32 v15, 0x900, v16
	global_load_b32 v10, v[13:14], off
	v_add_co_u32 v25, s0, 0x2400, v0
	s_delay_alu instid0(VALU_DEP_1) | instskip(SKIP_1) | instid1(VALU_DEP_1)
	v_add_co_ci_u32_e64 v28, s0, 0, v1, s0
	v_subrev_nc_u32_e32 v13, s15, v15
	v_ashrrev_i32_e32 v14, 31, v13
	s_delay_alu instid0(VALU_DEP_1) | instskip(SKIP_1) | instid1(VALU_DEP_1)
	v_lshlrev_b64 v[11:12], 2, v[13:14]
	v_subrev_nc_u32_e32 v13, s15, v27
	v_ashrrev_i32_e32 v14, 31, v13
	s_delay_alu instid0(VALU_DEP_3) | instskip(NEXT) | instid1(VALU_DEP_1)
	v_add_co_u32 v29, s0, v18, v11
	v_add_co_ci_u32_e64 v30, s0, v19, v12, s0
	v_cndmask_b32_e32 v12, v26, v23, vcc_lo
	v_cmp_gt_i32_e64 s0, s15, v15
	v_add_nc_u32_e32 v15, 0xb00, v16
	v_lshlrev_b64 v[13:14], 2, v[13:14]
	v_cndmask_b32_e32 v11, v24, v22, vcc_lo
	v_add_co_u32 v26, vcc_lo, 0x2800, v0
	s_delay_alu instid0(VALU_DEP_4)
	v_subrev_nc_u32_e32 v24, s15, v15
	v_cndmask_b32_e64 v23, v30, v28, s0
	v_add_co_ci_u32_e32 v28, vcc_lo, 0, v1, vcc_lo
	v_add_co_u32 v13, vcc_lo, v18, v13
	v_add_co_ci_u32_e32 v14, vcc_lo, v19, v14, vcc_lo
	v_cndmask_b32_e64 v22, v29, v25, s0
	v_ashrrev_i32_e32 v25, 31, v24
	v_cmp_gt_i32_e32 vcc_lo, s15, v27
	v_or_b32_e32 v27, 0xc00, v16
	global_load_b32 v11, v[11:12], off
	global_load_b32 v12, v[22:23], off
	v_lshlrev_b64 v[22:23], 2, v[24:25]
	v_cndmask_b32_e32 v14, v14, v28, vcc_lo
	v_subrev_nc_u32_e32 v24, s15, v27
	v_add_co_u32 v28, s0, 0x2c00, v0
	v_cndmask_b32_e32 v13, v13, v26, vcc_lo
	v_cmp_gt_i32_e32 vcc_lo, s15, v15
	s_delay_alu instid0(VALU_DEP_4)
	v_ashrrev_i32_e32 v25, 31, v24
	v_add_nc_u32_e32 v15, 0xd00, v16
	v_add_co_ci_u32_e64 v29, s0, 0, v1, s0
	v_add_co_u32 v30, s0, v18, v22
	v_lshlrev_b32_e32 v26, 2, v27
	v_add_co_ci_u32_e64 v22, s0, v19, v23, s0
	v_lshlrev_b64 v[23:24], 2, v[24:25]
	v_subrev_nc_u32_e32 v25, s15, v15
	s_delay_alu instid0(VALU_DEP_4) | instskip(NEXT) | instid1(VALU_DEP_4)
	v_add_co_u32 v20, s0, v20, v26
	v_cndmask_b32_e32 v22, v22, v29, vcc_lo
	v_add_co_ci_u32_e64 v29, s0, 0, v21, s0
	s_delay_alu instid0(VALU_DEP_4) | instskip(SKIP_1) | instid1(VALU_DEP_1)
	v_ashrrev_i32_e32 v26, 31, v25
	v_add_co_u32 v23, s0, v18, v23
	v_add_co_ci_u32_e64 v24, s0, v19, v24, s0
	v_cndmask_b32_e32 v21, v30, v28, vcc_lo
	v_cmp_gt_i32_e32 vcc_lo, s15, v27
	v_subrev_nc_u32_e32 v27, s15, v31
	v_lshlrev_b64 v[25:26], 2, v[25:26]
	v_dual_cndmask_b32 v23, v23, v20 :: v_dual_cndmask_b32 v24, v24, v29
	v_add_co_u32 v29, s0, 0x3400, v0
	s_delay_alu instid0(VALU_DEP_4) | instskip(SKIP_2) | instid1(VALU_DEP_1)
	v_ashrrev_i32_e32 v28, 31, v27
	v_add_co_ci_u32_e64 v30, s0, 0, v1, s0
	v_add_co_u32 v32, s0, v18, v25
	v_add_co_ci_u32_e64 v33, s0, v19, v26, s0
	s_delay_alu instid0(VALU_DEP_4) | instskip(SKIP_2) | instid1(VALU_DEP_1)
	v_lshlrev_b64 v[25:26], 2, v[27:28]
	v_cmp_gt_i32_e64 s0, s15, v15
	v_add_co_u32 v15, s1, 0x3800, v0
	v_add_co_ci_u32_e64 v27, s1, 0, v1, s1
	s_delay_alu instid0(VALU_DEP_4) | instskip(NEXT) | instid1(VALU_DEP_1)
	v_add_co_u32 v34, s1, v18, v25
	v_add_co_ci_u32_e64 v28, s1, v19, v26, s1
	v_cmp_gt_i32_e64 s1, s15, v31
	v_cndmask_b32_e64 v26, v33, v30, s0
	v_cndmask_b32_e64 v25, v32, v29, s0
	s_mov_b32 s0, exec_lo
	s_delay_alu instid0(VALU_DEP_3)
	v_cndmask_b32_e64 v28, v28, v27, s1
	v_cndmask_b32_e64 v27, v34, v15, s1
	global_load_b32 v13, v[13:14], off
	global_load_b32 v14, v[21:22], off
	;; [unrolled: 1-line block ×5, first 2 shown]
	v_add_nc_u32_e32 v24, 0xf00, v16
	v_add_nc_u32_e32 v22, s15, v17
                                        ; implicit-def: $vgpr23
	s_delay_alu instid0(VALU_DEP_1)
	v_cmpx_lt_i32_e64 v24, v22
	s_cbranch_execz .LBB25_253
; %bb.252:
	v_subrev_nc_u32_e32 v25, s15, v24
	v_add_co_u32 v0, vcc_lo, 0x3c00, v0
	v_add_co_ci_u32_e32 v1, vcc_lo, 0, v1, vcc_lo
	s_delay_alu instid0(VALU_DEP_3) | instskip(NEXT) | instid1(VALU_DEP_1)
	v_ashrrev_i32_e32 v26, 31, v25
	v_lshlrev_b64 v[25:26], 2, v[25:26]
	s_delay_alu instid0(VALU_DEP_1) | instskip(NEXT) | instid1(VALU_DEP_2)
	v_add_co_u32 v18, vcc_lo, v18, v25
	v_add_co_ci_u32_e32 v19, vcc_lo, v19, v26, vcc_lo
	v_cmp_gt_i32_e32 vcc_lo, s15, v24
	s_delay_alu instid0(VALU_DEP_2)
	v_dual_cndmask_b32 v1, v19, v1 :: v_dual_cndmask_b32 v0, v18, v0
	global_load_b32 v23, v[0:1], off
.LBB25_253:
	s_or_b32 exec_lo, exec_lo, s0
	v_lshlrev_b32_e32 v0, 4, v16
	s_waitcnt vmcnt(13)
	ds_store_2addr_stride64_b32 v2, v3, v4 offset0:4 offset1:8
	s_waitcnt vmcnt(11)
	ds_store_2addr_stride64_b32 v2, v5, v6 offset0:12 offset1:16
	;; [unrolled: 2-line block ×4, first 2 shown]
	s_lshl_b32 s1, s15, 2
	s_mov_b32 s0, exec_lo
	s_waitcnt vmcnt(5)
	ds_store_2addr_stride64_b32 v2, v11, v12 offset0:36 offset1:40
	s_waitcnt vmcnt(3)
	ds_store_2addr_stride64_b32 v2, v13, v14 offset0:44 offset1:48
	;; [unrolled: 2-line block ×4, first 2 shown]
	v_min_i32_e32 v1, v22, v0
	s_waitcnt lgkmcnt(0)
	s_waitcnt_vscnt null, 0x0
	s_barrier
	buffer_gl0_inv
	v_sub_nc_u32_e32 v0, v1, v17
	v_min_i32_e32 v3, s15, v1
	s_delay_alu instid0(VALU_DEP_2) | instskip(NEXT) | instid1(VALU_DEP_1)
	v_max_i32_e32 v0, 0, v0
	v_cmpx_lt_i32_e64 v0, v3
	s_cbranch_execz .LBB25_257
; %bb.254:
	v_lshlrev_b32_e32 v4, 2, v1
	s_mov_b32 s2, 0
	s_delay_alu instid0(VALU_DEP_1)
	v_add3_u32 v4, s1, v4, 0x400
	.p2align	6
.LBB25_255:                             ; =>This Inner Loop Header: Depth=1
	v_add_nc_u32_e32 v5, v3, v0
	s_delay_alu instid0(VALU_DEP_1) | instskip(NEXT) | instid1(VALU_DEP_1)
	v_ashrrev_i32_e32 v5, 1, v5
	v_not_b32_e32 v6, v5
	v_add_nc_u32_e32 v8, 1, v5
	v_lshlrev_b32_e32 v7, 2, v5
	s_delay_alu instid0(VALU_DEP_3)
	v_lshl_add_u32 v6, v6, 2, v4
	ds_load_b32 v7, v7 offset:1024
	ds_load_b32 v6, v6
	s_waitcnt lgkmcnt(0)
	v_cmp_lt_i32_e32 vcc_lo, v6, v7
	v_dual_cndmask_b32 v0, v8, v0 :: v_dual_cndmask_b32 v3, v3, v5
	s_delay_alu instid0(VALU_DEP_1) | instskip(SKIP_1) | instid1(SALU_CYCLE_1)
	v_cmp_ge_i32_e32 vcc_lo, v0, v3
	s_or_b32 s2, vcc_lo, s2
	s_and_not1_b32 exec_lo, exec_lo, s2
	s_cbranch_execnz .LBB25_255
; %bb.256:
	s_or_b32 exec_lo, exec_lo, s2
.LBB25_257:
	s_delay_alu instid0(SALU_CYCLE_1) | instskip(SKIP_3) | instid1(VALU_DEP_2)
	s_or_b32 exec_lo, exec_lo, s0
	v_sub_nc_u32_e32 v5, v1, v0
	v_mov_b32_e32 v4, 0
	s_mov_b32 s2, exec_lo
	v_cmpx_lt_i32_e64 v5, v17
	s_cbranch_execz .LBB25_292
; %bb.258:
	v_lshl_add_u32 v6, v5, 2, s1
	v_mov_b32_e32 v3, 0
	v_mov_b32_e32 v7, v0
	s_mov_b32 s0, exec_lo
	ds_load_b32 v4, v6 offset:1024
	v_cmpx_lt_i32_e32 0, v0
	s_cbranch_execnz .LBB25_268
; %bb.259:
	s_or_b32 exec_lo, exec_lo, s0
	s_delay_alu instid0(SALU_CYCLE_1)
	s_mov_b32 s0, exec_lo
	v_cmpx_lt_i32_e64 v3, v7
	s_cbranch_execnz .LBB25_269
.LBB25_260:
	s_or_b32 exec_lo, exec_lo, s0
	s_delay_alu instid0(SALU_CYCLE_1)
	s_mov_b32 s0, exec_lo
	v_cmpx_lt_i32_e64 v3, v7
	s_cbranch_execnz .LBB25_270
.LBB25_261:
	s_or_b32 exec_lo, exec_lo, s0
	s_delay_alu instid0(SALU_CYCLE_1)
	s_mov_b32 s0, exec_lo
	v_cmpx_lt_i32_e64 v3, v7
	s_cbranch_execnz .LBB25_271
.LBB25_262:
	s_or_b32 exec_lo, exec_lo, s0
	s_delay_alu instid0(SALU_CYCLE_1)
	s_mov_b32 s0, exec_lo
	v_cmpx_lt_i32_e64 v3, v7
	s_cbranch_execnz .LBB25_272
	s_branch .LBB25_275
.LBB25_263:
	v_add_nc_u32_e32 v5, 1, v4
	v_lshlrev_b32_e32 v6, 2, v4
	s_delay_alu instid0(VALU_DEP_2)
	v_mov_b32_e32 v4, v5
	ds_store_b32 v6, v15 offset:19456
	s_or_b32 exec_lo, exec_lo, s1
	s_and_saveexec_b32 s1, s12
	s_cbranch_execz .LBB25_219
.LBB25_264:
	v_lshlrev_b32_e32 v5, 2, v4
	v_add_nc_u32_e32 v4, 1, v4
	ds_store_b32 v5, v23 offset:19456
	s_or_b32 exec_lo, exec_lo, s1
	s_and_saveexec_b32 s1, s23
	s_cbranch_execz .LBB25_220
.LBB25_265:
	v_lshlrev_b32_e32 v5, 2, v4
	v_add_nc_u32_e32 v4, 1, v4
	ds_store_b32 v5, v24 offset:19456
	s_or_b32 exec_lo, exec_lo, s1
	s_and_saveexec_b32 s1, s11
	s_cbranch_execz .LBB25_221
.LBB25_266:
	v_lshlrev_b32_e32 v5, 2, v4
	v_add_nc_u32_e32 v4, 1, v4
	ds_store_b32 v5, v25 offset:19456
	s_or_b32 exec_lo, exec_lo, s1
	s_and_saveexec_b32 s1, s10
	s_cbranch_execz .LBB25_222
.LBB25_267:
	v_lshlrev_b32_e32 v5, 2, v4
	v_add_nc_u32_e32 v4, 1, v4
	ds_store_b32 v5, v26 offset:19456
	s_or_b32 exec_lo, exec_lo, s1
	s_and_saveexec_b32 s1, s9
	s_cbranch_execnz .LBB25_223
	s_branch .LBB25_224
.LBB25_268:
	v_mul_lo_u32 v3, 0x1ff, v0
	s_delay_alu instid0(VALU_DEP_1) | instskip(NEXT) | instid1(VALU_DEP_1)
	v_ashrrev_i32_e32 v7, 9, v3
	v_lshlrev_b32_e32 v3, 2, v7
	ds_load_b32 v3, v3 offset:1024
	s_waitcnt lgkmcnt(0)
	v_cmp_lt_i32_e32 vcc_lo, v3, v4
	v_dual_cndmask_b32 v7, v7, v0 :: v_dual_add_nc_u32 v8, 1, v7
	s_delay_alu instid0(VALU_DEP_1) | instskip(SKIP_1) | instid1(SALU_CYCLE_1)
	v_cndmask_b32_e32 v3, 0, v8, vcc_lo
	s_or_b32 exec_lo, exec_lo, s0
	s_mov_b32 s0, exec_lo
	s_delay_alu instid0(VALU_DEP_1)
	v_cmpx_lt_i32_e64 v3, v7
	s_cbranch_execz .LBB25_260
.LBB25_269:
	v_sub_nc_u32_e32 v8, v3, v7
	s_delay_alu instid0(VALU_DEP_1) | instskip(NEXT) | instid1(VALU_DEP_1)
	v_lshl_add_u32 v8, v7, 7, v8
	v_ashrrev_i32_e32 v8, 7, v8
	s_delay_alu instid0(VALU_DEP_1) | instskip(SKIP_4) | instid1(VALU_DEP_1)
	v_lshlrev_b32_e32 v9, 2, v8
	ds_load_b32 v9, v9 offset:1024
	s_waitcnt lgkmcnt(0)
	v_cmp_lt_i32_e32 vcc_lo, v9, v4
	v_dual_cndmask_b32 v7, v8, v7 :: v_dual_add_nc_u32 v10, 1, v8
	v_cndmask_b32_e32 v3, v3, v10, vcc_lo
	s_or_b32 exec_lo, exec_lo, s0
	s_delay_alu instid0(SALU_CYCLE_1) | instskip(NEXT) | instid1(VALU_DEP_1)
	s_mov_b32 s0, exec_lo
	v_cmpx_lt_i32_e64 v3, v7
	s_cbranch_execz .LBB25_261
.LBB25_270:
	v_sub_nc_u32_e32 v8, v3, v7
	s_delay_alu instid0(VALU_DEP_1) | instskip(NEXT) | instid1(VALU_DEP_1)
	v_lshl_add_u32 v8, v7, 5, v8
	v_ashrrev_i32_e32 v8, 5, v8
	s_delay_alu instid0(VALU_DEP_1) | instskip(SKIP_4) | instid1(VALU_DEP_1)
	v_lshlrev_b32_e32 v9, 2, v8
	ds_load_b32 v9, v9 offset:1024
	s_waitcnt lgkmcnt(0)
	v_cmp_lt_i32_e32 vcc_lo, v9, v4
	v_dual_cndmask_b32 v7, v8, v7 :: v_dual_add_nc_u32 v10, 1, v8
	v_cndmask_b32_e32 v3, v3, v10, vcc_lo
	s_or_b32 exec_lo, exec_lo, s0
	s_delay_alu instid0(SALU_CYCLE_1) | instskip(NEXT) | instid1(VALU_DEP_1)
	s_mov_b32 s0, exec_lo
	v_cmpx_lt_i32_e64 v3, v7
	s_cbranch_execz .LBB25_262
.LBB25_271:
	v_sub_nc_u32_e32 v8, v3, v7
	s_delay_alu instid0(VALU_DEP_1) | instskip(NEXT) | instid1(VALU_DEP_1)
	v_lshl_add_u32 v8, v7, 4, v8
	v_ashrrev_i32_e32 v8, 4, v8
	s_delay_alu instid0(VALU_DEP_1) | instskip(SKIP_4) | instid1(VALU_DEP_1)
	v_lshlrev_b32_e32 v9, 2, v8
	ds_load_b32 v9, v9 offset:1024
	s_waitcnt lgkmcnt(0)
	v_cmp_lt_i32_e32 vcc_lo, v9, v4
	v_dual_cndmask_b32 v7, v8, v7 :: v_dual_add_nc_u32 v10, 1, v8
	v_cndmask_b32_e32 v3, v3, v10, vcc_lo
	s_or_b32 exec_lo, exec_lo, s0
	s_delay_alu instid0(SALU_CYCLE_1) | instskip(NEXT) | instid1(VALU_DEP_1)
	s_mov_b32 s0, exec_lo
	v_cmpx_lt_i32_e64 v3, v7
	s_cbranch_execz .LBB25_275
.LBB25_272:
	s_mov_b32 s3, 0
.LBB25_273:                             ; =>This Inner Loop Header: Depth=1
	v_sub_nc_u32_e32 v8, v3, v7
	s_delay_alu instid0(VALU_DEP_1) | instskip(NEXT) | instid1(VALU_DEP_1)
	v_lshl_add_u32 v8, v7, 1, v8
	v_ashrrev_i32_e32 v8, 1, v8
	s_delay_alu instid0(VALU_DEP_1) | instskip(SKIP_4) | instid1(VALU_DEP_1)
	v_lshlrev_b32_e32 v9, 2, v8
	ds_load_b32 v9, v9 offset:1024
	s_waitcnt lgkmcnt(0)
	v_cmp_lt_i32_e32 vcc_lo, v9, v4
	v_dual_cndmask_b32 v7, v8, v7 :: v_dual_add_nc_u32 v10, 1, v8
	v_cndmask_b32_e32 v3, v3, v10, vcc_lo
	s_delay_alu instid0(VALU_DEP_1) | instskip(SKIP_1) | instid1(SALU_CYCLE_1)
	v_cmp_ge_i32_e32 vcc_lo, v3, v7
	s_or_b32 s3, vcc_lo, s3
	s_and_not1_b32 exec_lo, exec_lo, s3
	s_cbranch_execnz .LBB25_273
; %bb.274:
	s_or_b32 exec_lo, exec_lo, s3
.LBB25_275:
	s_delay_alu instid0(SALU_CYCLE_1)
	s_or_b32 exec_lo, exec_lo, s0
	v_dual_mov_b32 v7, 0 :: v_dual_add_nc_u32 v6, 0x400, v6
	v_mov_b32_e32 v8, v5
	s_mov_b32 s0, exec_lo
	v_cmpx_lt_i32_e32 0, v5
	s_cbranch_execnz .LBB25_280
; %bb.276:
	s_or_b32 exec_lo, exec_lo, s0
	s_delay_alu instid0(SALU_CYCLE_1)
	s_mov_b32 s0, exec_lo
	v_cmpx_lt_i32_e64 v7, v8
	s_cbranch_execnz .LBB25_281
.LBB25_277:
	s_or_b32 exec_lo, exec_lo, s0
	s_delay_alu instid0(SALU_CYCLE_1)
	s_mov_b32 s0, exec_lo
	v_cmpx_lt_i32_e64 v7, v8
	s_cbranch_execnz .LBB25_282
.LBB25_278:
	s_or_b32 exec_lo, exec_lo, s0
	s_delay_alu instid0(SALU_CYCLE_1)
	s_mov_b32 s0, exec_lo
	v_cmpx_lt_i32_e64 v7, v8
	s_cbranch_execnz .LBB25_283
.LBB25_279:
	s_or_b32 exec_lo, exec_lo, s0
	s_delay_alu instid0(SALU_CYCLE_1)
	s_mov_b32 s0, exec_lo
	v_cmpx_lt_i32_e64 v7, v8
	s_cbranch_execnz .LBB25_284
	s_branch .LBB25_287
.LBB25_280:
	v_mul_lo_u32 v7, 0x1ff, v5
	s_delay_alu instid0(VALU_DEP_1) | instskip(NEXT) | instid1(VALU_DEP_1)
	v_ashrrev_i32_e32 v8, 9, v7
	v_lshl_add_u32 v7, v8, 2, s1
	ds_load_b32 v7, v7 offset:1024
	s_waitcnt lgkmcnt(0)
	v_cmp_lt_i32_e32 vcc_lo, v7, v4
	v_dual_cndmask_b32 v8, v8, v5 :: v_dual_add_nc_u32 v9, 1, v8
	s_delay_alu instid0(VALU_DEP_1) | instskip(SKIP_1) | instid1(SALU_CYCLE_1)
	v_cndmask_b32_e32 v7, 0, v9, vcc_lo
	s_or_b32 exec_lo, exec_lo, s0
	s_mov_b32 s0, exec_lo
	s_delay_alu instid0(VALU_DEP_1)
	v_cmpx_lt_i32_e64 v7, v8
	s_cbranch_execz .LBB25_277
.LBB25_281:
	v_sub_nc_u32_e32 v9, v7, v8
	s_delay_alu instid0(VALU_DEP_1) | instskip(NEXT) | instid1(VALU_DEP_1)
	v_lshl_add_u32 v9, v8, 7, v9
	v_ashrrev_i32_e32 v9, 7, v9
	s_delay_alu instid0(VALU_DEP_1) | instskip(SKIP_4) | instid1(VALU_DEP_1)
	v_lshl_add_u32 v10, v9, 2, s1
	ds_load_b32 v10, v10 offset:1024
	s_waitcnt lgkmcnt(0)
	v_cmp_lt_i32_e32 vcc_lo, v10, v4
	v_dual_cndmask_b32 v8, v9, v8 :: v_dual_add_nc_u32 v11, 1, v9
	v_cndmask_b32_e32 v7, v7, v11, vcc_lo
	s_or_b32 exec_lo, exec_lo, s0
	s_delay_alu instid0(SALU_CYCLE_1) | instskip(NEXT) | instid1(VALU_DEP_1)
	s_mov_b32 s0, exec_lo
	v_cmpx_lt_i32_e64 v7, v8
	s_cbranch_execz .LBB25_278
.LBB25_282:
	v_sub_nc_u32_e32 v9, v7, v8
	s_delay_alu instid0(VALU_DEP_1) | instskip(NEXT) | instid1(VALU_DEP_1)
	v_lshl_add_u32 v9, v8, 5, v9
	v_ashrrev_i32_e32 v9, 5, v9
	s_delay_alu instid0(VALU_DEP_1) | instskip(SKIP_4) | instid1(VALU_DEP_1)
	v_lshl_add_u32 v10, v9, 2, s1
	ds_load_b32 v10, v10 offset:1024
	s_waitcnt lgkmcnt(0)
	v_cmp_lt_i32_e32 vcc_lo, v10, v4
	v_dual_cndmask_b32 v8, v9, v8 :: v_dual_add_nc_u32 v11, 1, v9
	v_cndmask_b32_e32 v7, v7, v11, vcc_lo
	s_or_b32 exec_lo, exec_lo, s0
	s_delay_alu instid0(SALU_CYCLE_1) | instskip(NEXT) | instid1(VALU_DEP_1)
	s_mov_b32 s0, exec_lo
	v_cmpx_lt_i32_e64 v7, v8
	s_cbranch_execz .LBB25_279
.LBB25_283:
	v_sub_nc_u32_e32 v9, v7, v8
	s_delay_alu instid0(VALU_DEP_1) | instskip(NEXT) | instid1(VALU_DEP_1)
	v_lshl_add_u32 v9, v8, 4, v9
	v_ashrrev_i32_e32 v9, 4, v9
	s_delay_alu instid0(VALU_DEP_1) | instskip(SKIP_4) | instid1(VALU_DEP_1)
	v_lshl_add_u32 v10, v9, 2, s1
	ds_load_b32 v10, v10 offset:1024
	s_waitcnt lgkmcnt(0)
	v_cmp_lt_i32_e32 vcc_lo, v10, v4
	v_dual_cndmask_b32 v8, v9, v8 :: v_dual_add_nc_u32 v11, 1, v9
	v_cndmask_b32_e32 v7, v7, v11, vcc_lo
	s_or_b32 exec_lo, exec_lo, s0
	s_delay_alu instid0(SALU_CYCLE_1) | instskip(NEXT) | instid1(VALU_DEP_1)
	s_mov_b32 s0, exec_lo
	v_cmpx_lt_i32_e64 v7, v8
	s_cbranch_execz .LBB25_287
.LBB25_284:
	s_add_i32 s4, s1, 0x400
	s_mov_b32 s3, 0
.LBB25_285:                             ; =>This Inner Loop Header: Depth=1
	v_sub_nc_u32_e32 v9, v7, v8
	s_delay_alu instid0(VALU_DEP_1) | instskip(NEXT) | instid1(VALU_DEP_1)
	v_lshl_add_u32 v9, v8, 1, v9
	v_ashrrev_i32_e32 v9, 1, v9
	s_delay_alu instid0(VALU_DEP_1) | instskip(SKIP_4) | instid1(VALU_DEP_1)
	v_lshl_add_u32 v10, v9, 2, s4
	ds_load_b32 v10, v10
	s_waitcnt lgkmcnt(0)
	v_cmp_lt_i32_e32 vcc_lo, v10, v4
	v_dual_cndmask_b32 v8, v9, v8 :: v_dual_add_nc_u32 v11, 1, v9
	v_cndmask_b32_e32 v7, v7, v11, vcc_lo
	s_delay_alu instid0(VALU_DEP_1) | instskip(SKIP_1) | instid1(SALU_CYCLE_1)
	v_cmp_ge_i32_e32 vcc_lo, v7, v8
	s_or_b32 s3, vcc_lo, s3
	s_and_not1_b32 exec_lo, exec_lo, s3
	s_cbranch_execnz .LBB25_285
; %bb.286:
	s_or_b32 exec_lo, exec_lo, s3
.LBB25_287:
	s_delay_alu instid0(SALU_CYCLE_1) | instskip(SKIP_4) | instid1(VALU_DEP_1)
	s_or_b32 exec_lo, exec_lo, s0
	v_sub_nc_u32_e32 v0, v0, v3
	v_sub_nc_u32_e32 v9, v5, v7
	s_mov_b32 s3, 0
	s_mov_b32 s0, exec_lo
	v_add_nc_u32_e32 v8, v9, v0
	s_delay_alu instid0(VALU_DEP_1) | instskip(NEXT) | instid1(VALU_DEP_1)
	v_ashrrev_i32_e32 v0, 1, v8
	v_max_i32_e32 v0, v0, v9
	s_delay_alu instid0(VALU_DEP_1) | instskip(NEXT) | instid1(VALU_DEP_1)
	v_add3_u32 v7, v7, v0, 1
	v_min_i32_e32 v7, v7, v17
	s_delay_alu instid0(VALU_DEP_1) | instskip(SKIP_1) | instid1(VALU_DEP_2)
	v_sub_nc_u32_e32 v7, v7, v5
	v_mov_b32_e32 v5, 0
	v_cmpx_lt_i32_e32 0, v7
	s_cbranch_execz .LBB25_291
; %bb.288:
	v_mov_b32_e32 v5, 0
.LBB25_289:                             ; =>This Inner Loop Header: Depth=1
	s_delay_alu instid0(VALU_DEP_1) | instskip(NEXT) | instid1(VALU_DEP_1)
	v_add_nc_u32_e32 v10, v5, v7
	v_ashrrev_i32_e32 v10, 1, v10
	s_delay_alu instid0(VALU_DEP_1)
	v_lshl_add_u32 v11, v10, 2, v6
	v_add_nc_u32_e32 v12, 1, v10
	ds_load_b32 v11, v11
	s_waitcnt lgkmcnt(0)
	v_cmp_gt_i32_e32 vcc_lo, v11, v4
	v_cndmask_b32_e32 v5, v12, v5, vcc_lo
	v_cndmask_b32_e32 v7, v7, v10, vcc_lo
	s_delay_alu instid0(VALU_DEP_1) | instskip(SKIP_1) | instid1(SALU_CYCLE_1)
	v_cmp_ge_i32_e32 vcc_lo, v5, v7
	s_or_b32 s3, vcc_lo, s3
	s_and_not1_b32 exec_lo, exec_lo, s3
	s_cbranch_execnz .LBB25_289
; %bb.290:
	s_or_b32 exec_lo, exec_lo, s3
.LBB25_291:
	s_delay_alu instid0(SALU_CYCLE_1) | instskip(SKIP_2) | instid1(VALU_DEP_1)
	s_or_b32 exec_lo, exec_lo, s0
	s_waitcnt lgkmcnt(0)
	v_add_nc_u32_e32 v4, v5, v9
	v_min_i32_e32 v5, v4, v0
	v_cmp_lt_i32_e32 vcc_lo, v0, v4
	s_delay_alu instid0(VALU_DEP_2) | instskip(SKIP_1) | instid1(VALU_DEP_2)
	v_sub_nc_u32_e32 v6, v8, v5
	v_add_nc_u32_e32 v5, 1, v5
	v_add_nc_u32_e32 v0, v6, v3
	s_delay_alu instid0(VALU_DEP_2) | instskip(NEXT) | instid1(VALU_DEP_1)
	v_cmp_eq_u32_e64 s0, v6, v5
	s_and_b32 s0, vcc_lo, s0
	s_delay_alu instid0(SALU_CYCLE_1)
	v_cndmask_b32_e64 v4, 0, 1, s0
.LBB25_292:
	s_or_b32 exec_lo, exec_lo, s2
	s_delay_alu instid0(VALU_DEP_1)
	v_add_nc_u32_e32 v1, v4, v1
	s_lshl_b32 s0, s15, 16
	v_add_nc_u32_e32 v3, -1, v16
	v_or_b32_e32 v5, s0, v17
	v_cmp_eq_u32_e64 s0, 0, v16
	v_sub_nc_u32_e32 v4, v1, v0
	v_lshlrev_b32_e32 v7, 2, v0
	s_delay_alu instid0(VALU_DEP_3) | instskip(NEXT) | instid1(VALU_DEP_3)
	v_cndmask_b32_e64 v3, v3, 0xff, s0
	v_lshl_or_b32 v6, v0, 16, v4
	s_delay_alu instid0(VALU_DEP_2) | instskip(NEXT) | instid1(VALU_DEP_2)
	v_lshlrev_b32_e32 v3, 2, v3
	v_cndmask_b32_e64 v5, v6, v5, s0
	v_lshl_add_u32 v6, v4, 2, s1
	ds_store_b32 v3, v5
	s_waitcnt lgkmcnt(0)
	s_barrier
	buffer_gl0_inv
	ds_load_b32 v2, v2
	ds_load_b32 v15, v7 offset:1024
	ds_load_b32 v6, v6 offset:1024
	s_waitcnt lgkmcnt(2)
	v_ashrrev_i32_e32 v3, 16, v2
	v_and_b32_e32 v5, 0xffff, v2
	s_waitcnt lgkmcnt(0)
	v_cmp_lt_i32_e32 vcc_lo, v6, v15
	v_mov_b32_e32 v17, v15
	v_cmp_le_i32_e64 s2, v3, v0
	v_cndmask_b32_e64 v2, 0, 1, vcc_lo
	v_cmp_le_i32_e32 vcc_lo, v5, v4
	s_delay_alu instid0(VALU_DEP_3)
	v_cndmask_b32_e64 v8, 0, 1, s2
	s_or_b32 s1, s2, vcc_lo
	s_delay_alu instid0(VALU_DEP_1) | instid1(SALU_CYCLE_1)
	v_cndmask_b32_e64 v2, v2, v8, s1
	s_delay_alu instid0(VALU_DEP_1) | instskip(NEXT) | instid1(VALU_DEP_1)
	v_and_b32_e32 v2, 1, v2
	v_cmp_eq_u32_e64 s3, 1, v2
	s_delay_alu instid0(VALU_DEP_1) | instskip(NEXT) | instid1(SALU_CYCLE_1)
	s_xor_b32 s4, s3, -1
	s_and_saveexec_b32 s3, s4
	s_cbranch_execz .LBB25_294
; %bb.293:
	ds_load_b32 v17, v7 offset:1028
	v_add_nc_u32_e32 v0, 1, v0
.LBB25_294:
	s_or_b32 exec_lo, exec_lo, s3
	s_xor_b32 s3, s2, -1
	v_cmp_lt_i32_e64 s2, v15, v6
	s_delay_alu instid0(VALU_DEP_1) | instskip(SKIP_1) | instid1(SALU_CYCLE_1)
	v_cndmask_b32_e64 v2, 0, 1, s2
	s_and_b32 s2, vcc_lo, s3
	v_cndmask_b32_e64 v7, 0, 1, s2
	s_delay_alu instid0(VALU_DEP_1) | instskip(NEXT) | instid1(VALU_DEP_1)
	v_cndmask_b32_e64 v2, v2, v7, s1
	v_and_b32_e32 v2, 1, v2
	s_delay_alu instid0(VALU_DEP_1) | instskip(SKIP_2) | instid1(SALU_CYCLE_1)
	v_cmp_eq_u32_e32 vcc_lo, 1, v2
	v_add_nc_u32_e32 v2, s15, v4
	s_xor_b32 s2, vcc_lo, -1
	s_and_saveexec_b32 s1, s2
	s_cbranch_execz .LBB25_296
; %bb.295:
	s_delay_alu instid0(VALU_DEP_1)
	v_lshlrev_b32_e32 v4, 2, v2
	v_add_nc_u32_e32 v2, 1, v2
	ds_load_b32 v6, v4 offset:1028
.LBB25_296:
	s_or_b32 exec_lo, exec_lo, s1
	s_waitcnt lgkmcnt(0)
	v_dual_mov_b32 v18, v17 :: v_dual_add_nc_u32 v7, s15, v5
	v_cmp_ge_i32_e64 s1, v0, v3
	v_cmp_lt_i32_e64 s3, v6, v17
	s_delay_alu instid0(VALU_DEP_3) | instskip(NEXT) | instid1(VALU_DEP_3)
	v_cmp_ge_i32_e64 s2, v2, v7
	v_cndmask_b32_e64 v4, 0, 1, s1
	s_delay_alu instid0(VALU_DEP_3) | instskip(NEXT) | instid1(VALU_DEP_3)
	v_cndmask_b32_e64 v5, 0, 1, s3
	s_or_b32 s3, s1, s2
	s_delay_alu instid0(VALU_DEP_1) | instid1(SALU_CYCLE_1)
	v_cndmask_b32_e64 v4, v5, v4, s3
	s_delay_alu instid0(VALU_DEP_1) | instskip(NEXT) | instid1(VALU_DEP_1)
	v_and_b32_e32 v4, 1, v4
	v_cmp_eq_u32_e64 s3, 1, v4
	v_mov_b32_e32 v4, v0
	s_delay_alu instid0(VALU_DEP_2) | instskip(NEXT) | instid1(SALU_CYCLE_1)
	s_xor_b32 s4, s3, -1
	s_and_saveexec_b32 s3, s4
	s_cbranch_execz .LBB25_298
; %bb.297:
	v_lshlrev_b32_e32 v4, 2, v0
	ds_load_b32 v18, v4 offset:1028
	v_add_nc_u32_e32 v4, 1, v0
.LBB25_298:
	s_or_b32 exec_lo, exec_lo, s3
	v_cmp_lt_i32_e64 s3, v17, v6
	s_xor_b32 s1, s1, -1
	v_mov_b32_e32 v5, v2
	s_delay_alu instid0(VALU_DEP_2) | instskip(NEXT) | instid1(SALU_CYCLE_1)
	s_or_b32 s2, s2, s3
	s_and_b32 s18, s1, s2
	s_delay_alu instid0(SALU_CYCLE_1) | instskip(NEXT) | instid1(SALU_CYCLE_1)
	s_xor_b32 s2, s18, -1
	s_and_saveexec_b32 s1, s2
	s_cbranch_execz .LBB25_300
; %bb.299:
	v_lshlrev_b32_e32 v5, 2, v2
	ds_load_b32 v6, v5 offset:1028
	v_add_nc_u32_e32 v5, 1, v2
.LBB25_300:
	s_or_b32 exec_lo, exec_lo, s1
	v_cmp_ge_i32_e64 s1, v4, v3
	s_waitcnt lgkmcnt(0)
	v_cmp_lt_i32_e64 s3, v6, v18
	v_cmp_ge_i32_e64 s2, v5, v7
	v_mov_b32_e32 v19, v18
	v_cndmask_b32_e64 v8, 0, 1, s1
	s_delay_alu instid0(VALU_DEP_4) | instskip(NEXT) | instid1(VALU_DEP_4)
	v_cndmask_b32_e64 v9, 0, 1, s3
	s_or_b32 s3, s1, s2
	s_delay_alu instid0(VALU_DEP_1) | instid1(SALU_CYCLE_1)
	v_cndmask_b32_e64 v8, v9, v8, s3
	s_delay_alu instid0(VALU_DEP_1) | instskip(NEXT) | instid1(VALU_DEP_1)
	v_and_b32_e32 v8, 1, v8
	v_cmp_eq_u32_e64 s3, 1, v8
	v_mov_b32_e32 v8, v4
	s_delay_alu instid0(VALU_DEP_2) | instskip(NEXT) | instid1(SALU_CYCLE_1)
	s_xor_b32 s4, s3, -1
	s_and_saveexec_b32 s3, s4
	s_cbranch_execz .LBB25_302
; %bb.301:
	v_lshlrev_b32_e32 v8, 2, v4
	ds_load_b32 v19, v8 offset:1028
	v_add_nc_u32_e32 v8, 1, v4
.LBB25_302:
	s_or_b32 exec_lo, exec_lo, s3
	v_cmp_lt_i32_e64 s3, v18, v6
	s_xor_b32 s1, s1, -1
	v_mov_b32_e32 v9, v5
	s_delay_alu instid0(VALU_DEP_2) | instskip(NEXT) | instid1(SALU_CYCLE_1)
	s_or_b32 s2, s2, s3
	s_and_b32 s19, s1, s2
	s_delay_alu instid0(SALU_CYCLE_1) | instskip(NEXT) | instid1(SALU_CYCLE_1)
	s_xor_b32 s2, s19, -1
	s_and_saveexec_b32 s1, s2
	s_cbranch_execz .LBB25_304
; %bb.303:
	v_lshlrev_b32_e32 v6, 2, v5
	v_add_nc_u32_e32 v9, 1, v5
	ds_load_b32 v6, v6 offset:1028
.LBB25_304:
	s_or_b32 exec_lo, exec_lo, s1
	v_cmp_ge_i32_e64 s1, v8, v3
	s_waitcnt lgkmcnt(0)
	v_cmp_lt_i32_e64 s3, v6, v19
	v_cmp_ge_i32_e64 s2, v9, v7
	v_mov_b32_e32 v20, v19
	v_cndmask_b32_e64 v10, 0, 1, s1
	s_delay_alu instid0(VALU_DEP_4) | instskip(NEXT) | instid1(VALU_DEP_4)
	v_cndmask_b32_e64 v11, 0, 1, s3
	s_or_b32 s3, s1, s2
	s_delay_alu instid0(VALU_DEP_1) | instid1(SALU_CYCLE_1)
	v_cndmask_b32_e64 v10, v11, v10, s3
	s_delay_alu instid0(VALU_DEP_1) | instskip(NEXT) | instid1(VALU_DEP_1)
	v_and_b32_e32 v10, 1, v10
	v_cmp_eq_u32_e64 s3, 1, v10
	v_mov_b32_e32 v10, v8
	s_delay_alu instid0(VALU_DEP_2) | instskip(NEXT) | instid1(SALU_CYCLE_1)
	s_xor_b32 s4, s3, -1
	s_and_saveexec_b32 s3, s4
	s_cbranch_execz .LBB25_306
; %bb.305:
	v_lshlrev_b32_e32 v10, 2, v8
	ds_load_b32 v20, v10 offset:1028
	v_add_nc_u32_e32 v10, 1, v8
.LBB25_306:
	s_or_b32 exec_lo, exec_lo, s3
	v_cmp_lt_i32_e64 s3, v19, v6
	s_xor_b32 s1, s1, -1
	v_mov_b32_e32 v11, v9
	s_delay_alu instid0(VALU_DEP_2) | instskip(NEXT) | instid1(SALU_CYCLE_1)
	s_or_b32 s2, s2, s3
	s_and_b32 s23, s1, s2
	s_delay_alu instid0(SALU_CYCLE_1) | instskip(NEXT) | instid1(SALU_CYCLE_1)
	s_xor_b32 s2, s23, -1
	s_and_saveexec_b32 s1, s2
	s_cbranch_execz .LBB25_308
; %bb.307:
	v_lshlrev_b32_e32 v6, 2, v9
	v_add_nc_u32_e32 v11, 1, v9
	ds_load_b32 v6, v6 offset:1028
.LBB25_308:
	;; [unrolled: 41-line block ×3, first 2 shown]
	s_or_b32 exec_lo, exec_lo, s1
	v_cmp_ge_i32_e64 s1, v12, v3
	s_waitcnt lgkmcnt(0)
	v_cmp_lt_i32_e64 s3, v6, v21
	v_cmp_ge_i32_e64 s2, v13, v7
	s_delay_alu instid0(VALU_DEP_3) | instskip(NEXT) | instid1(VALU_DEP_3)
	v_cndmask_b32_e64 v14, 0, 1, s1
	v_cndmask_b32_e64 v22, 0, 1, s3
	s_delay_alu instid0(VALU_DEP_3)
	s_or_b32 s3, s1, s2
	s_delay_alu instid0(VALU_DEP_1) | instid1(SALU_CYCLE_1)
	v_cndmask_b32_e64 v14, v22, v14, s3
	v_mov_b32_e32 v22, v21
	s_delay_alu instid0(VALU_DEP_2) | instskip(NEXT) | instid1(VALU_DEP_1)
	v_and_b32_e32 v14, 1, v14
	v_cmp_eq_u32_e64 s3, 1, v14
	v_mov_b32_e32 v14, v12
	s_delay_alu instid0(VALU_DEP_2) | instskip(NEXT) | instid1(SALU_CYCLE_1)
	s_xor_b32 s4, s3, -1
	s_and_saveexec_b32 s3, s4
	s_cbranch_execz .LBB25_314
; %bb.313:
	v_lshlrev_b32_e32 v14, 2, v12
	ds_load_b32 v22, v14 offset:1028
	v_add_nc_u32_e32 v14, 1, v12
.LBB25_314:
	s_or_b32 exec_lo, exec_lo, s3
	v_cmp_lt_i32_e64 s3, v21, v6
	s_xor_b32 s1, s1, -1
	v_mov_b32_e32 v32, v13
	s_delay_alu instid0(VALU_DEP_2) | instskip(NEXT) | instid1(SALU_CYCLE_1)
	s_or_b32 s2, s2, s3
	s_and_b32 s25, s1, s2
	s_delay_alu instid0(SALU_CYCLE_1) | instskip(NEXT) | instid1(SALU_CYCLE_1)
	s_xor_b32 s2, s25, -1
	s_and_saveexec_b32 s1, s2
	s_cbranch_execz .LBB25_316
; %bb.315:
	v_lshlrev_b32_e32 v6, 2, v13
	v_add_nc_u32_e32 v32, 1, v13
	ds_load_b32 v6, v6 offset:1028
.LBB25_316:
	s_or_b32 exec_lo, exec_lo, s1
	v_cmp_ge_i32_e64 s1, v14, v3
	s_waitcnt lgkmcnt(0)
	v_cmp_lt_i32_e64 s3, v6, v22
	v_cmp_ge_i32_e64 s2, v32, v7
	v_mov_b32_e32 v33, v14
	v_cndmask_b32_e64 v23, 0, 1, s1
	s_delay_alu instid0(VALU_DEP_4) | instskip(NEXT) | instid1(VALU_DEP_4)
	v_cndmask_b32_e64 v24, 0, 1, s3
	s_or_b32 s3, s1, s2
	s_delay_alu instid0(VALU_DEP_1) | instid1(SALU_CYCLE_1)
	v_cndmask_b32_e64 v23, v24, v23, s3
	s_delay_alu instid0(VALU_DEP_1) | instskip(NEXT) | instid1(VALU_DEP_1)
	v_and_b32_e32 v23, 1, v23
	v_cmp_eq_u32_e64 s3, 1, v23
	v_mov_b32_e32 v23, v22
	s_delay_alu instid0(VALU_DEP_2) | instskip(NEXT) | instid1(SALU_CYCLE_1)
	s_xor_b32 s4, s3, -1
	s_and_saveexec_b32 s3, s4
	s_cbranch_execz .LBB25_318
; %bb.317:
	v_lshlrev_b32_e32 v23, 2, v14
	v_add_nc_u32_e32 v33, 1, v14
	ds_load_b32 v23, v23 offset:1028
.LBB25_318:
	s_or_b32 exec_lo, exec_lo, s3
	v_cmp_lt_i32_e64 s3, v22, v6
	s_xor_b32 s1, s1, -1
	v_mov_b32_e32 v34, v32
	s_delay_alu instid0(VALU_DEP_2) | instskip(NEXT) | instid1(SALU_CYCLE_1)
	s_or_b32 s2, s2, s3
	s_and_b32 s26, s1, s2
	s_delay_alu instid0(SALU_CYCLE_1) | instskip(NEXT) | instid1(SALU_CYCLE_1)
	s_xor_b32 s2, s26, -1
	s_and_saveexec_b32 s1, s2
	s_cbranch_execz .LBB25_320
; %bb.319:
	v_lshlrev_b32_e32 v6, 2, v32
	v_add_nc_u32_e32 v34, 1, v32
	ds_load_b32 v6, v6 offset:1028
.LBB25_320:
	s_or_b32 exec_lo, exec_lo, s1
	v_cmp_ge_i32_e64 s1, v33, v3
	s_waitcnt lgkmcnt(0)
	v_cmp_lt_i32_e64 s3, v6, v23
	v_cmp_ge_i32_e64 s2, v34, v7
	v_mov_b32_e32 v35, v33
	v_cndmask_b32_e64 v24, 0, 1, s1
	s_delay_alu instid0(VALU_DEP_4) | instskip(NEXT) | instid1(VALU_DEP_4)
	v_cndmask_b32_e64 v25, 0, 1, s3
	s_or_b32 s3, s1, s2
	s_delay_alu instid0(VALU_DEP_1) | instid1(SALU_CYCLE_1)
	v_cndmask_b32_e64 v24, v25, v24, s3
	s_delay_alu instid0(VALU_DEP_1) | instskip(NEXT) | instid1(VALU_DEP_1)
	v_and_b32_e32 v24, 1, v24
	v_cmp_eq_u32_e64 s3, 1, v24
	v_mov_b32_e32 v24, v23
	s_delay_alu instid0(VALU_DEP_2) | instskip(NEXT) | instid1(SALU_CYCLE_1)
	s_xor_b32 s4, s3, -1
	s_and_saveexec_b32 s3, s4
	s_cbranch_execz .LBB25_322
; %bb.321:
	v_lshlrev_b32_e32 v24, 2, v33
	v_add_nc_u32_e32 v35, 1, v33
	ds_load_b32 v24, v24 offset:1028
.LBB25_322:
	;; [unrolled: 41-line block ×8, first 2 shown]
	s_or_b32 exec_lo, exec_lo, s3
	v_cmp_lt_i32_e64 s3, v29, v6
	s_xor_b32 s1, s1, -1
	v_mov_b32_e32 v48, v46
	s_delay_alu instid0(VALU_DEP_2) | instskip(NEXT) | instid1(SALU_CYCLE_1)
	s_or_b32 s2, s2, s3
	s_and_b32 s34, s1, s2
	s_delay_alu instid0(SALU_CYCLE_1) | instskip(NEXT) | instid1(SALU_CYCLE_1)
	s_xor_b32 s2, s34, -1
	s_and_saveexec_b32 s1, s2
	s_cbranch_execz .LBB25_348
; %bb.347:
	v_lshlrev_b32_e32 v6, 2, v46
	v_add_nc_u32_e32 v48, 1, v46
	ds_load_b32 v6, v6 offset:1028
.LBB25_348:
	s_or_b32 exec_lo, exec_lo, s1
	v_cmp_ge_i32_e64 s1, v47, v3
	s_waitcnt lgkmcnt(0)
	v_cmp_lt_i32_e64 s3, v6, v30
	v_cmp_ge_i32_e64 s2, v48, v7
	s_delay_alu instid0(VALU_DEP_3) | instskip(NEXT) | instid1(VALU_DEP_3)
	v_cndmask_b32_e64 v31, 0, 1, s1
	v_cndmask_b32_e64 v49, 0, 1, s3
	s_delay_alu instid0(VALU_DEP_3)
	s_or_b32 s3, s1, s2
	s_delay_alu instid0(VALU_DEP_1) | instid1(SALU_CYCLE_1)
	v_cndmask_b32_e64 v31, v49, v31, s3
	v_mov_b32_e32 v49, v47
	s_delay_alu instid0(VALU_DEP_2) | instskip(NEXT) | instid1(VALU_DEP_1)
	v_and_b32_e32 v31, 1, v31
	v_cmp_eq_u32_e64 s3, 1, v31
	v_mov_b32_e32 v31, v30
	s_delay_alu instid0(VALU_DEP_2) | instskip(NEXT) | instid1(SALU_CYCLE_1)
	s_xor_b32 s4, s3, -1
	s_and_saveexec_b32 s3, s4
	s_cbranch_execz .LBB25_350
; %bb.349:
	v_lshlrev_b32_e32 v31, 2, v47
	v_add_nc_u32_e32 v49, 1, v47
	ds_load_b32 v31, v31 offset:1028
.LBB25_350:
	s_or_b32 exec_lo, exec_lo, s3
	v_cmp_lt_i32_e64 s3, v30, v6
	s_xor_b32 s1, s1, -1
	v_mov_b32_e32 v50, v48
	s_delay_alu instid0(VALU_DEP_2) | instskip(NEXT) | instid1(SALU_CYCLE_1)
	s_or_b32 s2, s2, s3
	s_and_b32 s35, s1, s2
	s_delay_alu instid0(SALU_CYCLE_1) | instskip(NEXT) | instid1(SALU_CYCLE_1)
	s_xor_b32 s2, s35, -1
	s_and_saveexec_b32 s1, s2
	s_cbranch_execz .LBB25_352
; %bb.351:
	v_lshlrev_b32_e32 v6, 2, v48
	v_add_nc_u32_e32 v50, 1, v48
	ds_load_b32 v6, v6 offset:1028
.LBB25_352:
	s_or_b32 exec_lo, exec_lo, s1
	v_cmp_ge_i32_e64 s1, v50, v7
	s_waitcnt lgkmcnt(0)
	v_cmp_lt_i32_e64 s2, v31, v6
	v_add_nc_u32_e32 v7, v7, v3
	v_cmp_lt_i32_e64 s3, v49, v3
	v_add_nc_u32_e32 v3, v48, v47
	v_add_nc_u32_e32 v6, v50, v49
	s_or_b32 s2, s1, s2
	v_add_nc_u32_e32 v0, v2, v0
	s_and_b32 s36, s3, s2
	v_cmp_lt_i32_e64 s2, v3, v7
	v_add_nc_u32_e32 v3, v34, v33
	v_add_nc_u32_e32 v1, s15, v1
	v_dual_mov_b32 v9, 0 :: v_dual_add_nc_u32 v2, v9, v8
	v_cmp_lt_i32_e64 s1, v6, v7
	s_delay_alu instid0(VALU_DEP_4)
	v_cmp_lt_i32_e64 s7, v3, v7
	v_add_nc_u32_e32 v3, v5, v4
	v_add_nc_u32_e32 v6, v46, v45
	;; [unrolled: 1-line block ×3, first 2 shown]
	v_cmp_lt_i32_e64 s12, v0, v7
	v_cmp_lt_i32_e64 s14, v1, v7
	;; [unrolled: 1-line block ×4, first 2 shown]
	v_add_nc_u32_e32 v6, v32, v14
	v_add_nc_u32_e32 v12, v13, v12
	v_cmp_lt_i32_e64 s11, v4, v7
	v_cmp_lt_i32_e64 s13, v2, v7
	s_and_b32 s15, s10, s19
	s_and_b32 s12, s12, s18
	s_and_b32 s14, s14, vcc_lo
	v_cndmask_b32_e64 v0, 0, 4, s15
	v_cndmask_b32_e64 v1, 0, 2, s12
	;; [unrolled: 1-line block ×3, first 2 shown]
	v_cmp_lt_i32_e64 s8, v6, v7
	v_cmp_lt_i32_e64 s9, v12, v7
	s_and_b32 s10, s11, s24
	s_and_b32 s11, s13, s23
	v_cndmask_b32_e64 v3, 0, 16, s10
	v_cndmask_b32_e64 v4, 0, 8, s11
	v_or3_b32 v0, v1, v2, v0
	v_add_nc_u32_e32 v13, v38, v37
	v_add_nc_u32_e32 v14, v36, v35
	s_and_b32 s8, s8, s26
	s_and_b32 s9, s9, s25
	v_cndmask_b32_e64 v1, 0, 64, s8
	v_cndmask_b32_e64 v2, 0, 32, s9
	v_or3_b32 v0, v0, v4, v3
	v_add_nc_u32_e32 v41, v42, v41
	v_cmp_lt_i32_e32 vcc_lo, v13, v7
	v_add_nc_u32_e32 v39, v40, v39
	v_cmp_lt_i32_e64 s8, v14, v7
	s_and_b32 s7, s7, s27
	v_or3_b32 v37, v0, v2, v1
	v_cndmask_b32_e64 v3, 0, 0x80, s7
	v_cmp_lt_i32_e64 s5, v41, v7
	s_and_b32 s7, vcc_lo, s29
	v_add_nc_u32_e32 v43, v44, v43
	v_cmp_lt_i32_e64 s6, v39, v7
	v_cndmask_b32_e64 v0, 0, 0x200, s7
	s_and_b32 s7, s8, s28
	v_or_b32_e32 v36, v3, v37
	v_cndmask_b32_e64 v1, 0, 0x100, s7
	s_and_b32 s5, s5, s31
	v_cmp_lt_i32_e64 s4, v43, v7
	v_cndmask_b32_e64 v2, 0, 0x800, s5
	s_and_b32 s5, s6, s30
	v_or3_b32 v35, v1, v0, v36
	v_cndmask_b32_e64 v3, 0, 0x400, s5
	s_and_b32 s3, s3, s34
	s_and_b32 s1, s1, s36
	v_cndmask_b32_e64 v0, 0, 0x2000, s3
	s_and_b32 s3, s4, s33
	v_or3_b32 v34, v3, v2, v35
	v_cndmask_b32_e64 v1, 0, 0x1000, s3
	v_cndmask_b32_e64 v2, 0, 0x8000, s1
	s_and_b32 s1, s2, s35
	v_mbcnt_lo_u32_b32 v38, -1, 0
	v_cndmask_b32_e64 v3, 0, 0x4000, s1
	v_or3_b32 v33, v1, v0, v34
	s_cmp_lg_u32 s22, 0
	s_barrier
	buffer_gl0_inv
	v_or3_b32 v32, v3, v2, v33
	s_delay_alu instid0(VALU_DEP_1)
	v_bcnt_u32_b32 v8, v32, 0
	s_cbranch_scc0 .LBB25_414
; %bb.353:
	s_delay_alu instid0(VALU_DEP_1)
	v_dual_mov_b32 v3, v8 :: v_dual_and_b32 v4, 15, v38
	v_mov_b32_dpp v6, v8 row_shr:1 row_mask:0xf bank_mask:0xf
	v_mov_b32_dpp v5, v9 row_shr:1 row_mask:0xf bank_mask:0xf
	v_mov_b32_e32 v2, v9
	v_dual_mov_b32 v0, v8 :: v_dual_mov_b32 v1, v9
	s_mov_b32 s1, exec_lo
	v_cmpx_ne_u32_e32 0, v4
; %bb.354:
	v_add_co_u32 v3, s2, v6, v8
	s_delay_alu instid0(VALU_DEP_1) | instskip(NEXT) | instid1(VALU_DEP_2)
	v_add_co_ci_u32_e64 v0, null, 0, 0, s2
	v_add_co_u32 v1, vcc_lo, 0, v3
	s_delay_alu instid0(VALU_DEP_2) | instskip(NEXT) | instid1(VALU_DEP_2)
	v_add_co_ci_u32_e32 v2, vcc_lo, v5, v0, vcc_lo
	v_mov_b32_e32 v0, v1
	s_delay_alu instid0(VALU_DEP_2)
	v_mov_b32_e32 v1, v2
; %bb.355:
	s_or_b32 exec_lo, exec_lo, s1
	v_mov_b32_dpp v6, v3 row_shr:2 row_mask:0xf bank_mask:0xf
	v_mov_b32_dpp v5, v2 row_shr:2 row_mask:0xf bank_mask:0xf
	s_mov_b32 s1, exec_lo
	v_cmpx_lt_u32_e32 1, v4
; %bb.356:
	s_delay_alu instid0(VALU_DEP_3) | instskip(SKIP_1) | instid1(VALU_DEP_2)
	v_add_co_u32 v3, vcc_lo, v0, v6
	v_add_co_ci_u32_e32 v0, vcc_lo, 0, v1, vcc_lo
	v_add_co_u32 v1, vcc_lo, 0, v3
	s_delay_alu instid0(VALU_DEP_2) | instskip(NEXT) | instid1(VALU_DEP_2)
	v_add_co_ci_u32_e32 v2, vcc_lo, v5, v0, vcc_lo
	v_mov_b32_e32 v0, v1
	s_delay_alu instid0(VALU_DEP_2)
	v_mov_b32_e32 v1, v2
; %bb.357:
	s_or_b32 exec_lo, exec_lo, s1
	v_mov_b32_dpp v6, v3 row_shr:4 row_mask:0xf bank_mask:0xf
	v_mov_b32_dpp v5, v2 row_shr:4 row_mask:0xf bank_mask:0xf
	s_mov_b32 s1, exec_lo
	v_cmpx_lt_u32_e32 3, v4
; %bb.358:
	s_delay_alu instid0(VALU_DEP_3) | instskip(SKIP_1) | instid1(VALU_DEP_2)
	v_add_co_u32 v3, vcc_lo, v0, v6
	v_add_co_ci_u32_e32 v0, vcc_lo, 0, v1, vcc_lo
	;; [unrolled: 16-line block ×3, first 2 shown]
	v_add_co_u32 v0, vcc_lo, 0, v3
	s_delay_alu instid0(VALU_DEP_2) | instskip(NEXT) | instid1(VALU_DEP_1)
	v_add_co_ci_u32_e32 v1, vcc_lo, v5, v1, vcc_lo
	v_mov_b32_e32 v2, v1
; %bb.361:
	s_or_b32 exec_lo, exec_lo, s1
	ds_swizzle_b32 v4, v3 offset:swizzle(BROADCAST,32,15)
	ds_swizzle_b32 v2, v2 offset:swizzle(BROADCAST,32,15)
	v_and_b32_e32 v5, 16, v38
	s_mov_b32 s1, exec_lo
	s_delay_alu instid0(VALU_DEP_1)
	v_cmpx_ne_u32_e32 0, v5
	s_cbranch_execz .LBB25_363
; %bb.362:
	s_waitcnt lgkmcnt(1)
	v_add_co_u32 v3, vcc_lo, v0, v4
	v_add_co_ci_u32_e32 v1, vcc_lo, 0, v1, vcc_lo
	s_delay_alu instid0(VALU_DEP_2) | instskip(SKIP_1) | instid1(VALU_DEP_2)
	v_add_co_u32 v0, vcc_lo, 0, v3
	s_waitcnt lgkmcnt(0)
	v_add_co_ci_u32_e32 v1, vcc_lo, v2, v1, vcc_lo
.LBB25_363:
	s_or_b32 exec_lo, exec_lo, s1
	s_waitcnt lgkmcnt(0)
	v_and_b32_e32 v2, 0x3e0, v16
	s_mov_b32 s1, exec_lo
	s_delay_alu instid0(VALU_DEP_1) | instskip(NEXT) | instid1(VALU_DEP_1)
	v_min_u32_e32 v2, 0xe0, v2
	v_or_b32_e32 v4, 31, v2
	v_lshrrev_b32_e32 v2, 5, v16
	s_delay_alu instid0(VALU_DEP_2)
	v_cmpx_eq_u32_e64 v4, v16
	s_cbranch_execz .LBB25_365
; %bb.364:
	s_delay_alu instid0(VALU_DEP_2)
	v_lshlrev_b32_e32 v4, 3, v2
	ds_store_b64 v4, v[0:1]
.LBB25_365:
	s_or_b32 exec_lo, exec_lo, s1
	s_delay_alu instid0(SALU_CYCLE_1)
	s_mov_b32 s1, exec_lo
	s_waitcnt lgkmcnt(0)
	s_barrier
	buffer_gl0_inv
	v_cmpx_gt_u32_e32 8, v16
	s_cbranch_execz .LBB25_373
; %bb.366:
	v_lshlrev_b32_e32 v4, 3, v16
	s_mov_b32 s2, exec_lo
	ds_load_b64 v[0:1], v4
	s_waitcnt lgkmcnt(0)
	v_dual_mov_b32 v6, v0 :: v_dual_and_b32 v5, 7, v38
	v_mov_b32_dpp v10, v0 row_shr:1 row_mask:0xf bank_mask:0xf
	v_mov_b32_dpp v7, v1 row_shr:1 row_mask:0xf bank_mask:0xf
	s_delay_alu instid0(VALU_DEP_3)
	v_cmpx_ne_u32_e32 0, v5
; %bb.367:
	s_delay_alu instid0(VALU_DEP_3) | instskip(SKIP_1) | instid1(VALU_DEP_2)
	v_add_co_u32 v6, vcc_lo, v0, v10
	v_add_co_ci_u32_e32 v1, vcc_lo, 0, v1, vcc_lo
	v_add_co_u32 v0, vcc_lo, 0, v6
	s_delay_alu instid0(VALU_DEP_2)
	v_add_co_ci_u32_e32 v1, vcc_lo, v7, v1, vcc_lo
; %bb.368:
	s_or_b32 exec_lo, exec_lo, s2
	v_mov_b32_dpp v10, v6 row_shr:2 row_mask:0xf bank_mask:0xf
	s_delay_alu instid0(VALU_DEP_2)
	v_mov_b32_dpp v7, v1 row_shr:2 row_mask:0xf bank_mask:0xf
	s_mov_b32 s2, exec_lo
	v_cmpx_lt_u32_e32 1, v5
; %bb.369:
	s_delay_alu instid0(VALU_DEP_3) | instskip(SKIP_1) | instid1(VALU_DEP_2)
	v_add_co_u32 v6, vcc_lo, v0, v10
	v_add_co_ci_u32_e32 v1, vcc_lo, 0, v1, vcc_lo
	v_add_co_u32 v0, vcc_lo, 0, v6
	s_delay_alu instid0(VALU_DEP_2)
	v_add_co_ci_u32_e32 v1, vcc_lo, v7, v1, vcc_lo
; %bb.370:
	s_or_b32 exec_lo, exec_lo, s2
	v_mov_b32_dpp v7, v6 row_shr:4 row_mask:0xf bank_mask:0xf
	s_delay_alu instid0(VALU_DEP_2)
	v_mov_b32_dpp v6, v1 row_shr:4 row_mask:0xf bank_mask:0xf
	s_mov_b32 s2, exec_lo
	v_cmpx_lt_u32_e32 3, v5
; %bb.371:
	s_delay_alu instid0(VALU_DEP_3) | instskip(SKIP_1) | instid1(VALU_DEP_2)
	v_add_co_u32 v0, vcc_lo, v0, v7
	v_add_co_ci_u32_e32 v1, vcc_lo, 0, v1, vcc_lo
	v_add_co_u32 v0, vcc_lo, v0, 0
	s_delay_alu instid0(VALU_DEP_2)
	v_add_co_ci_u32_e32 v1, vcc_lo, v1, v6, vcc_lo
; %bb.372:
	s_or_b32 exec_lo, exec_lo, s2
	ds_store_b64 v4, v[0:1]
.LBB25_373:
	s_or_b32 exec_lo, exec_lo, s1
	v_cmp_gt_u32_e32 vcc_lo, 32, v16
	s_mov_b32 s2, exec_lo
	s_waitcnt lgkmcnt(0)
	s_barrier
	buffer_gl0_inv
                                        ; implicit-def: $vgpr10_vgpr11
	v_cmpx_lt_u32_e32 31, v16
	s_cbranch_execz .LBB25_375
; %bb.374:
	v_lshl_add_u32 v0, v2, 3, -8
	ds_load_b64 v[10:11], v0
	s_waitcnt lgkmcnt(0)
	v_add_nc_u32_e32 v3, v3, v10
.LBB25_375:
	s_or_b32 exec_lo, exec_lo, s2
	v_add_nc_u32_e32 v0, -1, v38
	s_delay_alu instid0(VALU_DEP_1) | instskip(NEXT) | instid1(VALU_DEP_1)
	v_cmp_gt_i32_e64 s1, 0, v0
	v_cndmask_b32_e64 v0, v0, v38, s1
	v_cmp_eq_u32_e64 s1, 0, v38
	s_delay_alu instid0(VALU_DEP_2)
	v_lshlrev_b32_e32 v0, 2, v0
	ds_bpermute_b32 v39, v0, v3
	s_and_saveexec_b32 s2, vcc_lo
	s_cbranch_execz .LBB25_413
; %bb.376:
	v_mov_b32_e32 v3, 0
	ds_load_b64 v[0:1], v3 offset:56
	s_and_saveexec_b32 s3, s1
	s_cbranch_execz .LBB25_378
; %bb.377:
	s_add_i32 s4, s22, 32
	s_mov_b32 s5, 0
	s_delay_alu instid0(SALU_CYCLE_1) | instskip(NEXT) | instid1(SALU_CYCLE_1)
	s_lshl_b64 s[4:5], s[4:5], 4
	s_add_u32 s4, s20, s4
	s_addc_u32 s5, s21, s5
	v_mov_b32_e32 v4, s4
	v_dual_mov_b32 v2, 1 :: v_dual_mov_b32 v5, s5
	s_waitcnt lgkmcnt(0)
	;;#ASMSTART
	global_store_dwordx4 v[4:5], v[0:3] off	
s_waitcnt vmcnt(0)
	;;#ASMEND
.LBB25_378:
	s_or_b32 exec_lo, exec_lo, s3
	v_xad_u32 v11, v38, -1, s22
	s_mov_b32 s4, 0
	s_mov_b32 s3, exec_lo
	s_delay_alu instid0(VALU_DEP_1) | instskip(NEXT) | instid1(VALU_DEP_1)
	v_add_nc_u32_e32 v2, 32, v11
	v_lshlrev_b64 v[2:3], 4, v[2:3]
	s_delay_alu instid0(VALU_DEP_1) | instskip(NEXT) | instid1(VALU_DEP_2)
	v_add_co_u32 v2, vcc_lo, s20, v2
	v_add_co_ci_u32_e32 v3, vcc_lo, s21, v3, vcc_lo
	;;#ASMSTART
	global_load_dwordx4 v[4:7], v[2:3] off glc	
s_waitcnt vmcnt(0)
	;;#ASMEND
	v_and_b32_e32 v7, 0xff, v5
	v_and_b32_e32 v12, 0xff00, v5
	;; [unrolled: 1-line block ×3, first 2 shown]
	v_or3_b32 v4, v4, 0, 0
	v_and_b32_e32 v5, 0xff000000, v5
	s_delay_alu instid0(VALU_DEP_4) | instskip(SKIP_1) | instid1(VALU_DEP_4)
	v_or3_b32 v7, 0, v7, v12
	v_and_b32_e32 v12, 0xff, v6
	v_or3_b32 v4, v4, 0, 0
	s_delay_alu instid0(VALU_DEP_3) | instskip(NEXT) | instid1(VALU_DEP_3)
	v_or3_b32 v5, v7, v13, v5
	v_cmpx_eq_u16_e32 0, v12
	s_cbranch_execz .LBB25_381
.LBB25_379:                             ; =>This Inner Loop Header: Depth=1
	;;#ASMSTART
	global_load_dwordx4 v[4:7], v[2:3] off glc	
s_waitcnt vmcnt(0)
	;;#ASMEND
	v_and_b32_e32 v7, 0xff, v6
	s_delay_alu instid0(VALU_DEP_1) | instskip(SKIP_1) | instid1(SALU_CYCLE_1)
	v_cmp_ne_u16_e32 vcc_lo, 0, v7
	s_or_b32 s4, vcc_lo, s4
	s_and_not1_b32 exec_lo, exec_lo, s4
	s_cbranch_execnz .LBB25_379
; %bb.380:
	s_or_b32 exec_lo, exec_lo, s4
.LBB25_381:
	s_delay_alu instid0(SALU_CYCLE_1)
	s_or_b32 exec_lo, exec_lo, s3
	v_cmp_ne_u32_e32 vcc_lo, 31, v38
	v_and_b32_e32 v3, 0xff, v6
	v_lshlrev_b32_e64 v41, v38, -1
	s_mov_b32 s3, exec_lo
	v_add_co_ci_u32_e32 v2, vcc_lo, 0, v38, vcc_lo
	s_delay_alu instid0(VALU_DEP_3) | instskip(NEXT) | instid1(VALU_DEP_2)
	v_cmp_eq_u16_e32 vcc_lo, 2, v3
	v_dual_mov_b32 v3, v4 :: v_dual_lshlrev_b32 v40, 2, v2
	v_and_or_b32 v2, vcc_lo, v41, 0x80000000
	ds_bpermute_b32 v12, v40, v4
	ds_bpermute_b32 v7, v40, v5
	v_ctz_i32_b32_e32 v2, v2
	s_delay_alu instid0(VALU_DEP_1)
	v_cmpx_lt_u32_e64 v38, v2
	s_cbranch_execz .LBB25_383
; %bb.382:
	s_waitcnt lgkmcnt(1)
	v_add_co_u32 v3, vcc_lo, v4, v12
	v_add_co_ci_u32_e32 v5, vcc_lo, 0, v5, vcc_lo
	s_delay_alu instid0(VALU_DEP_2) | instskip(SKIP_1) | instid1(VALU_DEP_2)
	v_add_co_u32 v4, vcc_lo, 0, v3
	s_waitcnt lgkmcnt(0)
	v_add_co_ci_u32_e32 v5, vcc_lo, v7, v5, vcc_lo
.LBB25_383:
	s_or_b32 exec_lo, exec_lo, s3
	v_cmp_gt_u32_e32 vcc_lo, 30, v38
	v_add_nc_u32_e32 v43, 2, v38
	s_mov_b32 s3, exec_lo
	s_waitcnt lgkmcnt(0)
	v_cndmask_b32_e64 v7, 0, 1, vcc_lo
	s_delay_alu instid0(VALU_DEP_1) | instskip(NEXT) | instid1(VALU_DEP_1)
	v_lshlrev_b32_e32 v7, 1, v7
	v_add_lshl_u32 v42, v7, v38, 2
	ds_bpermute_b32 v12, v42, v3
	ds_bpermute_b32 v7, v42, v5
	v_cmpx_le_u32_e64 v43, v2
	s_cbranch_execz .LBB25_385
; %bb.384:
	s_waitcnt lgkmcnt(1)
	v_add_co_u32 v3, vcc_lo, v4, v12
	v_add_co_ci_u32_e32 v5, vcc_lo, 0, v5, vcc_lo
	s_delay_alu instid0(VALU_DEP_2) | instskip(SKIP_1) | instid1(VALU_DEP_2)
	v_add_co_u32 v4, vcc_lo, 0, v3
	s_waitcnt lgkmcnt(0)
	v_add_co_ci_u32_e32 v5, vcc_lo, v7, v5, vcc_lo
.LBB25_385:
	s_or_b32 exec_lo, exec_lo, s3
	v_cmp_gt_u32_e32 vcc_lo, 28, v38
	v_add_nc_u32_e32 v45, 4, v38
	s_mov_b32 s3, exec_lo
	s_waitcnt lgkmcnt(0)
	v_cndmask_b32_e64 v7, 0, 1, vcc_lo
	s_delay_alu instid0(VALU_DEP_1) | instskip(NEXT) | instid1(VALU_DEP_1)
	v_lshlrev_b32_e32 v7, 2, v7
	v_add_lshl_u32 v44, v7, v38, 2
	ds_bpermute_b32 v12, v44, v3
	ds_bpermute_b32 v7, v44, v5
	v_cmpx_le_u32_e64 v45, v2
	;; [unrolled: 22-line block ×4, first 2 shown]
	s_cbranch_execz .LBB25_391
; %bb.390:
	s_waitcnt lgkmcnt(1)
	v_add_co_u32 v2, vcc_lo, v4, v7
	v_add_co_ci_u32_e32 v5, vcc_lo, 0, v5, vcc_lo
	s_delay_alu instid0(VALU_DEP_2) | instskip(SKIP_1) | instid1(VALU_DEP_2)
	v_add_co_u32 v4, vcc_lo, v2, 0
	s_waitcnt lgkmcnt(0)
	v_add_co_ci_u32_e32 v5, vcc_lo, v5, v3, vcc_lo
.LBB25_391:
	s_or_b32 exec_lo, exec_lo, s3
	v_mov_b32_e32 v12, 0
	s_branch .LBB25_393
.LBB25_392:                             ;   in Loop: Header=BB25_393 Depth=1
	s_or_b32 exec_lo, exec_lo, s3
	v_add_co_u32 v4, vcc_lo, v4, v2
	v_subrev_nc_u32_e32 v11, 32, v11
	v_add_co_ci_u32_e32 v5, vcc_lo, v5, v3, vcc_lo
.LBB25_393:                             ; =>This Loop Header: Depth=1
                                        ;     Child Loop BB25_396 Depth 2
	v_and_b32_e32 v2, 0xff, v6
	s_delay_alu instid0(VALU_DEP_1) | instskip(SKIP_2) | instid1(VALU_DEP_1)
	v_cmp_ne_u16_e32 vcc_lo, 2, v2
	v_cndmask_b32_e64 v2, 0, 1, vcc_lo
	;;#ASMSTART
	;;#ASMEND
	v_cmp_ne_u32_e32 vcc_lo, 0, v2
	s_waitcnt lgkmcnt(0)
	v_dual_mov_b32 v2, v4 :: v_dual_mov_b32 v3, v5
	s_cmp_lg_u32 vcc_lo, exec_lo
	s_cbranch_scc1 .LBB25_408
; %bb.394:                              ;   in Loop: Header=BB25_393 Depth=1
	v_lshlrev_b64 v[4:5], 4, v[11:12]
	s_mov_b32 s3, exec_lo
	s_delay_alu instid0(VALU_DEP_1) | instskip(NEXT) | instid1(VALU_DEP_2)
	v_add_co_u32 v13, vcc_lo, s20, v4
	v_add_co_ci_u32_e32 v14, vcc_lo, s21, v5, vcc_lo
	;;#ASMSTART
	global_load_dwordx4 v[4:7], v[13:14] off glc	
s_waitcnt vmcnt(0)
	;;#ASMEND
	v_and_b32_e32 v7, 0xff, v5
	v_and_b32_e32 v50, 0xff00, v5
	;; [unrolled: 1-line block ×3, first 2 shown]
	v_or3_b32 v4, v4, 0, 0
	v_and_b32_e32 v5, 0xff000000, v5
	s_delay_alu instid0(VALU_DEP_4) | instskip(SKIP_1) | instid1(VALU_DEP_4)
	v_or3_b32 v7, 0, v7, v50
	v_and_b32_e32 v50, 0xff, v6
	v_or3_b32 v4, v4, 0, 0
	s_delay_alu instid0(VALU_DEP_3) | instskip(NEXT) | instid1(VALU_DEP_3)
	v_or3_b32 v5, v7, v51, v5
	v_cmpx_eq_u16_e32 0, v50
	s_cbranch_execz .LBB25_398
; %bb.395:                              ;   in Loop: Header=BB25_393 Depth=1
	s_mov_b32 s4, 0
.LBB25_396:                             ;   Parent Loop BB25_393 Depth=1
                                        ; =>  This Inner Loop Header: Depth=2
	;;#ASMSTART
	global_load_dwordx4 v[4:7], v[13:14] off glc	
s_waitcnt vmcnt(0)
	;;#ASMEND
	v_and_b32_e32 v7, 0xff, v6
	s_delay_alu instid0(VALU_DEP_1) | instskip(SKIP_1) | instid1(SALU_CYCLE_1)
	v_cmp_ne_u16_e32 vcc_lo, 0, v7
	s_or_b32 s4, vcc_lo, s4
	s_and_not1_b32 exec_lo, exec_lo, s4
	s_cbranch_execnz .LBB25_396
; %bb.397:                              ;   in Loop: Header=BB25_393 Depth=1
	s_or_b32 exec_lo, exec_lo, s4
.LBB25_398:                             ;   in Loop: Header=BB25_393 Depth=1
	s_delay_alu instid0(SALU_CYCLE_1)
	s_or_b32 exec_lo, exec_lo, s3
	v_and_b32_e32 v7, 0xff, v6
	ds_bpermute_b32 v50, v40, v4
	ds_bpermute_b32 v14, v40, v5
	v_mov_b32_e32 v13, v4
	s_mov_b32 s3, exec_lo
	v_cmp_eq_u16_e32 vcc_lo, 2, v7
	v_and_or_b32 v7, vcc_lo, v41, 0x80000000
	s_delay_alu instid0(VALU_DEP_1) | instskip(NEXT) | instid1(VALU_DEP_1)
	v_ctz_i32_b32_e32 v7, v7
	v_cmpx_lt_u32_e64 v38, v7
	s_cbranch_execz .LBB25_400
; %bb.399:                              ;   in Loop: Header=BB25_393 Depth=1
	s_waitcnt lgkmcnt(1)
	v_add_co_u32 v13, vcc_lo, v4, v50
	v_add_co_ci_u32_e32 v5, vcc_lo, 0, v5, vcc_lo
	s_delay_alu instid0(VALU_DEP_2) | instskip(SKIP_1) | instid1(VALU_DEP_2)
	v_add_co_u32 v4, vcc_lo, 0, v13
	s_waitcnt lgkmcnt(0)
	v_add_co_ci_u32_e32 v5, vcc_lo, v14, v5, vcc_lo
.LBB25_400:                             ;   in Loop: Header=BB25_393 Depth=1
	s_or_b32 exec_lo, exec_lo, s3
	s_waitcnt lgkmcnt(1)
	ds_bpermute_b32 v50, v42, v13
	s_waitcnt lgkmcnt(1)
	ds_bpermute_b32 v14, v42, v5
	s_mov_b32 s3, exec_lo
	v_cmpx_le_u32_e64 v43, v7
	s_cbranch_execz .LBB25_402
; %bb.401:                              ;   in Loop: Header=BB25_393 Depth=1
	s_waitcnt lgkmcnt(1)
	v_add_co_u32 v13, vcc_lo, v4, v50
	v_add_co_ci_u32_e32 v5, vcc_lo, 0, v5, vcc_lo
	s_delay_alu instid0(VALU_DEP_2) | instskip(SKIP_1) | instid1(VALU_DEP_2)
	v_add_co_u32 v4, vcc_lo, 0, v13
	s_waitcnt lgkmcnt(0)
	v_add_co_ci_u32_e32 v5, vcc_lo, v14, v5, vcc_lo
.LBB25_402:                             ;   in Loop: Header=BB25_393 Depth=1
	s_or_b32 exec_lo, exec_lo, s3
	s_waitcnt lgkmcnt(1)
	ds_bpermute_b32 v50, v44, v13
	s_waitcnt lgkmcnt(1)
	ds_bpermute_b32 v14, v44, v5
	s_mov_b32 s3, exec_lo
	v_cmpx_le_u32_e64 v45, v7
	;; [unrolled: 17-line block ×3, first 2 shown]
	s_cbranch_execz .LBB25_406
; %bb.405:                              ;   in Loop: Header=BB25_393 Depth=1
	s_waitcnt lgkmcnt(1)
	v_add_co_u32 v13, vcc_lo, v4, v50
	v_add_co_ci_u32_e32 v5, vcc_lo, 0, v5, vcc_lo
	s_delay_alu instid0(VALU_DEP_2) | instskip(SKIP_1) | instid1(VALU_DEP_2)
	v_add_co_u32 v4, vcc_lo, 0, v13
	s_waitcnt lgkmcnt(0)
	v_add_co_ci_u32_e32 v5, vcc_lo, v14, v5, vcc_lo
.LBB25_406:                             ;   in Loop: Header=BB25_393 Depth=1
	s_or_b32 exec_lo, exec_lo, s3
	s_waitcnt lgkmcnt(0)
	ds_bpermute_b32 v14, v48, v13
	ds_bpermute_b32 v13, v48, v5
	s_mov_b32 s3, exec_lo
	v_cmpx_le_u32_e64 v49, v7
	s_cbranch_execz .LBB25_392
; %bb.407:                              ;   in Loop: Header=BB25_393 Depth=1
	s_waitcnt lgkmcnt(1)
	v_add_co_u32 v4, vcc_lo, v4, v14
	v_add_co_ci_u32_e32 v5, vcc_lo, 0, v5, vcc_lo
	s_delay_alu instid0(VALU_DEP_2) | instskip(SKIP_1) | instid1(VALU_DEP_2)
	v_add_co_u32 v4, vcc_lo, v4, 0
	s_waitcnt lgkmcnt(0)
	v_add_co_ci_u32_e32 v5, vcc_lo, v5, v13, vcc_lo
	s_branch .LBB25_392
.LBB25_408:                             ;   in Loop: Header=BB25_393 Depth=1
                                        ; implicit-def: $vgpr4_vgpr5
	s_cbranch_execz .LBB25_393
; %bb.409:
	s_and_saveexec_b32 s3, s1
	s_cbranch_execz .LBB25_411
; %bb.410:
	s_add_i32 s4, s22, 32
	s_mov_b32 s5, 0
	v_add_co_u32 v4, vcc_lo, v2, v0
	s_lshl_b64 s[4:5], s[4:5], 4
	v_dual_mov_b32 v6, 2 :: v_dual_mov_b32 v7, 0
	s_add_u32 s4, s20, s4
	s_addc_u32 s5, s21, s5
	v_add_co_ci_u32_e32 v5, vcc_lo, v3, v1, vcc_lo
	v_dual_mov_b32 v12, s5 :: v_dual_mov_b32 v11, s4
	;;#ASMSTART
	global_store_dwordx4 v[11:12], v[4:7] off	
s_waitcnt vmcnt(0)
	;;#ASMEND
	ds_store_b128 v7, v[0:3] offset:64
.LBB25_411:
	s_or_b32 exec_lo, exec_lo, s3
	s_delay_alu instid0(SALU_CYCLE_1)
	s_and_b32 exec_lo, exec_lo, s0
	s_cbranch_execz .LBB25_413
; %bb.412:
	v_mov_b32_e32 v0, 0
	ds_store_b64 v0, v[2:3] offset:56
.LBB25_413:
	s_or_b32 exec_lo, exec_lo, s2
	v_mov_b32_e32 v0, 0
	s_waitcnt lgkmcnt(0)
	s_barrier
	buffer_gl0_inv
	ds_load_b64 v[4:5], v0 offset:56
	s_waitcnt lgkmcnt(0)
	s_barrier
	buffer_gl0_inv
	ds_load_b128 v[0:3], v0 offset:64
	s_waitcnt lgkmcnt(0)
	v_cndmask_b32_e64 v1, v39, v10, s1
	s_delay_alu instid0(VALU_DEP_1) | instskip(NEXT) | instid1(VALU_DEP_1)
	v_cndmask_b32_e64 v1, v1, 0, s0
	v_add_co_u32 v4, vcc_lo, v4, v1
	s_branch .LBB25_440
.LBB25_414:
                                        ; implicit-def: $vgpr2_vgpr3
                                        ; implicit-def: $vgpr4_vgpr5
	s_cbranch_execz .LBB25_440
; %bb.415:
	v_dual_mov_b32 v2, 0 :: v_dual_and_b32 v3, 15, v38
	s_delay_alu instid0(VALU_DEP_2) | instskip(SKIP_1) | instid1(VALU_DEP_3)
	v_mov_b32_dpp v5, v8 row_shr:1 row_mask:0xf bank_mask:0xf
	v_dual_mov_b32 v0, v8 :: v_dual_mov_b32 v1, v9
	v_mov_b32_dpp v4, v2 row_shr:1 row_mask:0xf bank_mask:0xf
	s_mov_b32 s1, exec_lo
	v_cmpx_ne_u32_e32 0, v3
; %bb.416:
	v_add_co_u32 v8, s2, v5, v8
	s_delay_alu instid0(VALU_DEP_1) | instskip(NEXT) | instid1(VALU_DEP_2)
	v_add_co_ci_u32_e64 v0, null, 0, 0, s2
	v_add_co_u32 v1, vcc_lo, 0, v8
	s_delay_alu instid0(VALU_DEP_2) | instskip(NEXT) | instid1(VALU_DEP_2)
	v_add_co_ci_u32_e32 v2, vcc_lo, v4, v0, vcc_lo
	v_mov_b32_e32 v0, v1
	s_delay_alu instid0(VALU_DEP_2)
	v_mov_b32_e32 v1, v2
; %bb.417:
	s_or_b32 exec_lo, exec_lo, s1
	v_mov_b32_dpp v5, v8 row_shr:2 row_mask:0xf bank_mask:0xf
	v_mov_b32_dpp v4, v2 row_shr:2 row_mask:0xf bank_mask:0xf
	s_mov_b32 s1, exec_lo
	v_cmpx_lt_u32_e32 1, v3
; %bb.418:
	s_delay_alu instid0(VALU_DEP_3) | instskip(SKIP_1) | instid1(VALU_DEP_2)
	v_add_co_u32 v8, vcc_lo, v0, v5
	v_add_co_ci_u32_e32 v0, vcc_lo, 0, v1, vcc_lo
	v_add_co_u32 v1, vcc_lo, 0, v8
	s_delay_alu instid0(VALU_DEP_2) | instskip(NEXT) | instid1(VALU_DEP_2)
	v_add_co_ci_u32_e32 v2, vcc_lo, v4, v0, vcc_lo
	v_mov_b32_e32 v0, v1
	s_delay_alu instid0(VALU_DEP_2)
	v_mov_b32_e32 v1, v2
; %bb.419:
	s_or_b32 exec_lo, exec_lo, s1
	v_mov_b32_dpp v5, v8 row_shr:4 row_mask:0xf bank_mask:0xf
	v_mov_b32_dpp v4, v2 row_shr:4 row_mask:0xf bank_mask:0xf
	s_mov_b32 s1, exec_lo
	v_cmpx_lt_u32_e32 3, v3
; %bb.420:
	s_delay_alu instid0(VALU_DEP_3) | instskip(SKIP_1) | instid1(VALU_DEP_2)
	v_add_co_u32 v8, vcc_lo, v0, v5
	v_add_co_ci_u32_e32 v0, vcc_lo, 0, v1, vcc_lo
	;; [unrolled: 16-line block ×3, first 2 shown]
	v_add_co_u32 v0, vcc_lo, 0, v8
	s_delay_alu instid0(VALU_DEP_2) | instskip(NEXT) | instid1(VALU_DEP_1)
	v_add_co_ci_u32_e32 v1, vcc_lo, v4, v1, vcc_lo
	v_mov_b32_e32 v2, v1
; %bb.423:
	s_or_b32 exec_lo, exec_lo, s1
	ds_swizzle_b32 v3, v8 offset:swizzle(BROADCAST,32,15)
	ds_swizzle_b32 v2, v2 offset:swizzle(BROADCAST,32,15)
	v_and_b32_e32 v4, 16, v38
	s_mov_b32 s1, exec_lo
	s_delay_alu instid0(VALU_DEP_1)
	v_cmpx_ne_u32_e32 0, v4
	s_cbranch_execz .LBB25_425
; %bb.424:
	s_waitcnt lgkmcnt(1)
	v_add_co_u32 v8, vcc_lo, v0, v3
	v_add_co_ci_u32_e32 v1, vcc_lo, 0, v1, vcc_lo
	s_delay_alu instid0(VALU_DEP_2) | instskip(SKIP_1) | instid1(VALU_DEP_2)
	v_add_co_u32 v0, vcc_lo, 0, v8
	s_waitcnt lgkmcnt(0)
	v_add_co_ci_u32_e32 v1, vcc_lo, v2, v1, vcc_lo
.LBB25_425:
	s_or_b32 exec_lo, exec_lo, s1
	s_waitcnt lgkmcnt(0)
	v_and_b32_e32 v2, 0x3e0, v16
	v_lshrrev_b32_e32 v4, 5, v16
	s_mov_b32 s1, exec_lo
	s_delay_alu instid0(VALU_DEP_2) | instskip(NEXT) | instid1(VALU_DEP_1)
	v_min_u32_e32 v2, 0xe0, v2
	v_or_b32_e32 v2, 31, v2
	s_delay_alu instid0(VALU_DEP_1)
	v_cmpx_eq_u32_e64 v2, v16
	s_cbranch_execz .LBB25_427
; %bb.426:
	v_lshlrev_b32_e32 v2, 3, v4
	ds_store_b64 v2, v[0:1]
.LBB25_427:
	s_or_b32 exec_lo, exec_lo, s1
	s_delay_alu instid0(SALU_CYCLE_1)
	s_mov_b32 s1, exec_lo
	s_waitcnt lgkmcnt(0)
	s_barrier
	buffer_gl0_inv
	v_cmpx_gt_u32_e32 8, v16
	s_cbranch_execz .LBB25_435
; %bb.428:
	v_lshlrev_b32_e32 v2, 3, v16
	v_and_b32_e32 v3, 7, v38
	s_mov_b32 s2, exec_lo
	ds_load_b64 v[0:1], v2
	s_waitcnt lgkmcnt(0)
	v_mov_b32_e32 v5, v0
	v_mov_b32_dpp v7, v0 row_shr:1 row_mask:0xf bank_mask:0xf
	v_mov_b32_dpp v6, v1 row_shr:1 row_mask:0xf bank_mask:0xf
	v_cmpx_ne_u32_e32 0, v3
; %bb.429:
	s_delay_alu instid0(VALU_DEP_3) | instskip(SKIP_1) | instid1(VALU_DEP_2)
	v_add_co_u32 v5, vcc_lo, v0, v7
	v_add_co_ci_u32_e32 v1, vcc_lo, 0, v1, vcc_lo
	v_add_co_u32 v0, vcc_lo, 0, v5
	s_delay_alu instid0(VALU_DEP_2)
	v_add_co_ci_u32_e32 v1, vcc_lo, v6, v1, vcc_lo
; %bb.430:
	s_or_b32 exec_lo, exec_lo, s2
	v_mov_b32_dpp v7, v5 row_shr:2 row_mask:0xf bank_mask:0xf
	s_delay_alu instid0(VALU_DEP_2)
	v_mov_b32_dpp v6, v1 row_shr:2 row_mask:0xf bank_mask:0xf
	s_mov_b32 s2, exec_lo
	v_cmpx_lt_u32_e32 1, v3
; %bb.431:
	s_delay_alu instid0(VALU_DEP_3) | instskip(SKIP_1) | instid1(VALU_DEP_2)
	v_add_co_u32 v5, vcc_lo, v0, v7
	v_add_co_ci_u32_e32 v1, vcc_lo, 0, v1, vcc_lo
	v_add_co_u32 v0, vcc_lo, 0, v5
	s_delay_alu instid0(VALU_DEP_2)
	v_add_co_ci_u32_e32 v1, vcc_lo, v6, v1, vcc_lo
; %bb.432:
	s_or_b32 exec_lo, exec_lo, s2
	v_mov_b32_dpp v6, v5 row_shr:4 row_mask:0xf bank_mask:0xf
	s_delay_alu instid0(VALU_DEP_2)
	v_mov_b32_dpp v5, v1 row_shr:4 row_mask:0xf bank_mask:0xf
	s_mov_b32 s2, exec_lo
	v_cmpx_lt_u32_e32 3, v3
; %bb.433:
	s_delay_alu instid0(VALU_DEP_3) | instskip(SKIP_1) | instid1(VALU_DEP_2)
	v_add_co_u32 v0, vcc_lo, v0, v6
	v_add_co_ci_u32_e32 v1, vcc_lo, 0, v1, vcc_lo
	v_add_co_u32 v0, vcc_lo, v0, 0
	s_delay_alu instid0(VALU_DEP_2)
	v_add_co_ci_u32_e32 v1, vcc_lo, v1, v5, vcc_lo
; %bb.434:
	s_or_b32 exec_lo, exec_lo, s2
	ds_store_b64 v2, v[0:1]
.LBB25_435:
	s_or_b32 exec_lo, exec_lo, s1
	s_delay_alu instid0(SALU_CYCLE_1)
	s_mov_b32 s1, exec_lo
	v_mov_b32_e32 v2, 0
	v_mov_b32_e32 v3, 0
	s_waitcnt lgkmcnt(0)
	s_barrier
	buffer_gl0_inv
	v_cmpx_lt_u32_e32 31, v16
	s_cbranch_execz .LBB25_437
; %bb.436:
	v_lshl_add_u32 v0, v4, 3, -8
	ds_load_b64 v[2:3], v0
.LBB25_437:
	s_or_b32 exec_lo, exec_lo, s1
	s_waitcnt lgkmcnt(0)
	v_dual_mov_b32 v3, 0 :: v_dual_add_nc_u32 v0, -1, v38
	v_add_nc_u32_e32 v1, v8, v2
	s_delay_alu instid0(VALU_DEP_2) | instskip(SKIP_2) | instid1(VALU_DEP_2)
	v_cmp_gt_i32_e32 vcc_lo, 0, v0
	v_cndmask_b32_e32 v0, v0, v38, vcc_lo
	v_cmp_eq_u32_e32 vcc_lo, 0, v38
	v_lshlrev_b32_e32 v0, 2, v0
	ds_bpermute_b32 v4, v0, v1
	ds_load_b64 v[0:1], v3 offset:56
	s_waitcnt lgkmcnt(1)
	v_cndmask_b32_e32 v4, v4, v2, vcc_lo
	s_and_saveexec_b32 s1, s0
	s_cbranch_execz .LBB25_439
; %bb.438:
	s_add_u32 s2, s20, 0x200
	s_addc_u32 s3, s21, 0
	v_mov_b32_e32 v2, 2
	v_dual_mov_b32 v6, s3 :: v_dual_mov_b32 v5, s2
	s_waitcnt lgkmcnt(0)
	;;#ASMSTART
	global_store_dwordx4 v[5:6], v[0:3] off	
s_waitcnt vmcnt(0)
	;;#ASMEND
.LBB25_439:
	s_or_b32 exec_lo, exec_lo, s1
	v_mov_b32_e32 v2, 0
	v_mov_b32_e32 v3, 0
.LBB25_440:
	s_waitcnt lgkmcnt(0)
	s_delay_alu instid0(VALU_DEP_1)
	v_sub_nc_u32_e32 v1, v4, v2
	s_barrier
	buffer_gl0_inv
	s_and_saveexec_b32 s0, s14
	s_cbranch_execnz .LBB25_471
; %bb.441:
	s_or_b32 exec_lo, exec_lo, s0
	s_and_saveexec_b32 s0, s12
	s_cbranch_execnz .LBB25_472
.LBB25_442:
	s_or_b32 exec_lo, exec_lo, s0
	s_and_saveexec_b32 s0, s15
	s_cbranch_execnz .LBB25_473
.LBB25_443:
	s_or_b32 exec_lo, exec_lo, s0
	s_and_saveexec_b32 s0, s11
	s_cbranch_execnz .LBB25_474
.LBB25_444:
	s_or_b32 exec_lo, exec_lo, s0
	s_and_saveexec_b32 s0, s10
	s_cbranch_execnz .LBB25_475
.LBB25_445:
	s_or_b32 exec_lo, exec_lo, s0
	s_and_saveexec_b32 s0, s9
	s_cbranch_execz .LBB25_447
.LBB25_446:
	v_lshlrev_b32_e32 v4, 2, v1
	v_add_nc_u32_e32 v1, 1, v1
	ds_store_b32 v4, v21 offset:1024
.LBB25_447:
	s_or_b32 exec_lo, exec_lo, s0
	v_and_b32_e32 v4, 64, v37
	s_mov_b32 s0, exec_lo
	s_delay_alu instid0(VALU_DEP_1)
	v_cmpx_ne_u32_e32 0, v4
	s_cbranch_execz .LBB25_449
; %bb.448:
	v_lshlrev_b32_e32 v4, 2, v1
	v_add_nc_u32_e32 v1, 1, v1
	ds_store_b32 v4, v22 offset:1024
.LBB25_449:
	s_or_b32 exec_lo, exec_lo, s0
	v_and_b32_e32 v4, 0x80, v36
	s_mov_b32 s0, exec_lo
	s_delay_alu instid0(VALU_DEP_1)
	v_cmpx_ne_u32_e32 0, v4
	s_cbranch_execz .LBB25_451
; %bb.450:
	v_lshlrev_b32_e32 v4, 2, v1
	v_add_nc_u32_e32 v1, 1, v1
	ds_store_b32 v4, v23 offset:1024
.LBB25_451:
	;; [unrolled: 11-line block ×9, first 2 shown]
	s_or_b32 exec_lo, exec_lo, s0
	v_and_b32_e32 v4, 0x8000, v32
	s_mov_b32 s0, exec_lo
	s_delay_alu instid0(VALU_DEP_1)
	v_cmpx_ne_u32_e32 0, v4
	s_cbranch_execz .LBB25_467
; %bb.466:
	v_lshlrev_b32_e32 v1, 2, v1
	ds_store_b32 v1, v31 offset:1024
.LBB25_467:
	s_or_b32 exec_lo, exec_lo, s0
	s_waitcnt lgkmcnt(0)
	s_barrier
	buffer_gl0_inv
	s_mov_b32 s0, exec_lo
	v_cmpx_lt_i32_e64 v16, v0
	s_cbranch_execz .LBB25_470
; %bb.468:
	v_lshlrev_b64 v[1:2], 2, v[2:3]
	v_lshlrev_b32_e32 v4, 2, v16
	v_lshl_add_u32 v3, v16, 2, 0x400
	s_mov_b32 s1, 0
	s_delay_alu instid0(VALU_DEP_3) | instskip(NEXT) | instid1(VALU_DEP_4)
	v_add_co_u32 v1, vcc_lo, s16, v1
	v_add_co_ci_u32_e32 v2, vcc_lo, s17, v2, vcc_lo
	s_delay_alu instid0(VALU_DEP_2) | instskip(NEXT) | instid1(VALU_DEP_2)
	v_add_co_u32 v1, vcc_lo, v1, v4
	v_add_co_ci_u32_e32 v2, vcc_lo, 0, v2, vcc_lo
	.p2align	6
.LBB25_469:                             ; =>This Inner Loop Header: Depth=1
	ds_load_b32 v4, v3
	v_add_nc_u32_e32 v16, 0x100, v16
	v_add_nc_u32_e32 v3, 0x400, v3
	s_delay_alu instid0(VALU_DEP_2) | instskip(SKIP_4) | instid1(VALU_DEP_1)
	v_cmp_ge_i32_e32 vcc_lo, v16, v0
	s_or_b32 s1, vcc_lo, s1
	s_waitcnt lgkmcnt(0)
	global_store_b32 v[1:2], v4, off
	v_add_co_u32 v1, s0, 0x400, v1
	v_add_co_ci_u32_e64 v2, s0, 0, v2, s0
	s_and_not1_b32 exec_lo, exec_lo, s1
	s_cbranch_execnz .LBB25_469
.LBB25_470:
	s_nop 0
	s_sendmsg sendmsg(MSG_DEALLOC_VGPRS)
	s_endpgm
.LBB25_471:
	v_add_nc_u32_e32 v4, 1, v1
	v_lshlrev_b32_e32 v5, 2, v1
	s_delay_alu instid0(VALU_DEP_2)
	v_mov_b32_e32 v1, v4
	ds_store_b32 v5, v15 offset:1024
	s_or_b32 exec_lo, exec_lo, s0
	s_and_saveexec_b32 s0, s12
	s_cbranch_execz .LBB25_442
.LBB25_472:
	v_lshlrev_b32_e32 v4, 2, v1
	v_add_nc_u32_e32 v1, 1, v1
	ds_store_b32 v4, v17 offset:1024
	s_or_b32 exec_lo, exec_lo, s0
	s_and_saveexec_b32 s0, s15
	s_cbranch_execz .LBB25_443
.LBB25_473:
	v_lshlrev_b32_e32 v4, 2, v1
	v_add_nc_u32_e32 v1, 1, v1
	ds_store_b32 v4, v18 offset:1024
	s_or_b32 exec_lo, exec_lo, s0
	s_and_saveexec_b32 s0, s11
	s_cbranch_execz .LBB25_444
.LBB25_474:
	v_lshlrev_b32_e32 v4, 2, v1
	v_add_nc_u32_e32 v1, 1, v1
	ds_store_b32 v4, v19 offset:1024
	s_or_b32 exec_lo, exec_lo, s0
	s_and_saveexec_b32 s0, s10
	s_cbranch_execz .LBB25_445
.LBB25_475:
	v_lshlrev_b32_e32 v4, 2, v1
	v_add_nc_u32_e32 v1, 1, v1
	ds_store_b32 v4, v20 offset:1024
	s_or_b32 exec_lo, exec_lo, s0
	s_and_saveexec_b32 s0, s9
	s_cbranch_execnz .LBB25_446
	s_branch .LBB25_447
	.section	.rodata,"a",@progbits
	.p2align	6, 0x0
	.amdhsa_kernel _ZN6thrust23THRUST_200600_302600_NS11hip_rocprim16__set_operations22lookback_set_op_kernelIN7rocprim17ROCPRIM_400000_NS13kernel_configILj256ELj16ELj4294967295EEELb0ENS0_6detail15normal_iteratorINS0_10device_ptrIKiEEEESD_PiSE_lNS9_INSA_IiEEEESE_NS0_4lessIiEENS2_21serial_set_differenceENS5_6detail19lookback_scan_stateIlLb0ELb1EEEEEvT1_T2_T3_T4_T6_T7_T8_T9_PNS0_4pairIT5_SW_EEPSW_T10_NSK_16ordered_block_idIjEE
		.amdhsa_group_segment_fixed_size 36868
		.amdhsa_private_segment_fixed_size 0
		.amdhsa_kernarg_size 344
		.amdhsa_user_sgpr_count 15
		.amdhsa_user_sgpr_dispatch_ptr 0
		.amdhsa_user_sgpr_queue_ptr 0
		.amdhsa_user_sgpr_kernarg_segment_ptr 1
		.amdhsa_user_sgpr_dispatch_id 0
		.amdhsa_user_sgpr_private_segment_size 0
		.amdhsa_wavefront_size32 1
		.amdhsa_uses_dynamic_stack 0
		.amdhsa_enable_private_segment 0
		.amdhsa_system_sgpr_workgroup_id_x 1
		.amdhsa_system_sgpr_workgroup_id_y 0
		.amdhsa_system_sgpr_workgroup_id_z 0
		.amdhsa_system_sgpr_workgroup_info 0
		.amdhsa_system_vgpr_workitem_id 2
		.amdhsa_next_free_vgpr 58
		.amdhsa_next_free_sgpr 39
		.amdhsa_reserve_vcc 1
		.amdhsa_float_round_mode_32 0
		.amdhsa_float_round_mode_16_64 0
		.amdhsa_float_denorm_mode_32 3
		.amdhsa_float_denorm_mode_16_64 3
		.amdhsa_dx10_clamp 1
		.amdhsa_ieee_mode 1
		.amdhsa_fp16_overflow 0
		.amdhsa_workgroup_processor_mode 1
		.amdhsa_memory_ordered 1
		.amdhsa_forward_progress 0
		.amdhsa_shared_vgpr_count 0
		.amdhsa_exception_fp_ieee_invalid_op 0
		.amdhsa_exception_fp_denorm_src 0
		.amdhsa_exception_fp_ieee_div_zero 0
		.amdhsa_exception_fp_ieee_overflow 0
		.amdhsa_exception_fp_ieee_underflow 0
		.amdhsa_exception_fp_ieee_inexact 0
		.amdhsa_exception_int_div_zero 0
	.end_amdhsa_kernel
	.section	.text._ZN6thrust23THRUST_200600_302600_NS11hip_rocprim16__set_operations22lookback_set_op_kernelIN7rocprim17ROCPRIM_400000_NS13kernel_configILj256ELj16ELj4294967295EEELb0ENS0_6detail15normal_iteratorINS0_10device_ptrIKiEEEESD_PiSE_lNS9_INSA_IiEEEESE_NS0_4lessIiEENS2_21serial_set_differenceENS5_6detail19lookback_scan_stateIlLb0ELb1EEEEEvT1_T2_T3_T4_T6_T7_T8_T9_PNS0_4pairIT5_SW_EEPSW_T10_NSK_16ordered_block_idIjEE,"axG",@progbits,_ZN6thrust23THRUST_200600_302600_NS11hip_rocprim16__set_operations22lookback_set_op_kernelIN7rocprim17ROCPRIM_400000_NS13kernel_configILj256ELj16ELj4294967295EEELb0ENS0_6detail15normal_iteratorINS0_10device_ptrIKiEEEESD_PiSE_lNS9_INSA_IiEEEESE_NS0_4lessIiEENS2_21serial_set_differenceENS5_6detail19lookback_scan_stateIlLb0ELb1EEEEEvT1_T2_T3_T4_T6_T7_T8_T9_PNS0_4pairIT5_SW_EEPSW_T10_NSK_16ordered_block_idIjEE,comdat
.Lfunc_end25:
	.size	_ZN6thrust23THRUST_200600_302600_NS11hip_rocprim16__set_operations22lookback_set_op_kernelIN7rocprim17ROCPRIM_400000_NS13kernel_configILj256ELj16ELj4294967295EEELb0ENS0_6detail15normal_iteratorINS0_10device_ptrIKiEEEESD_PiSE_lNS9_INSA_IiEEEESE_NS0_4lessIiEENS2_21serial_set_differenceENS5_6detail19lookback_scan_stateIlLb0ELb1EEEEEvT1_T2_T3_T4_T6_T7_T8_T9_PNS0_4pairIT5_SW_EEPSW_T10_NSK_16ordered_block_idIjEE, .Lfunc_end25-_ZN6thrust23THRUST_200600_302600_NS11hip_rocprim16__set_operations22lookback_set_op_kernelIN7rocprim17ROCPRIM_400000_NS13kernel_configILj256ELj16ELj4294967295EEELb0ENS0_6detail15normal_iteratorINS0_10device_ptrIKiEEEESD_PiSE_lNS9_INSA_IiEEEESE_NS0_4lessIiEENS2_21serial_set_differenceENS5_6detail19lookback_scan_stateIlLb0ELb1EEEEEvT1_T2_T3_T4_T6_T7_T8_T9_PNS0_4pairIT5_SW_EEPSW_T10_NSK_16ordered_block_idIjEE
                                        ; -- End function
	.section	.AMDGPU.csdata,"",@progbits
; Kernel info:
; codeLenInByte = 22908
; NumSgprs: 41
; NumVgprs: 58
; ScratchSize: 0
; MemoryBound: 0
; FloatMode: 240
; IeeeMode: 1
; LDSByteSize: 36868 bytes/workgroup (compile time only)
; SGPRBlocks: 5
; VGPRBlocks: 7
; NumSGPRsForWavesPerEU: 41
; NumVGPRsForWavesPerEU: 58
; Occupancy: 6
; WaveLimiterHint : 1
; COMPUTE_PGM_RSRC2:SCRATCH_EN: 0
; COMPUTE_PGM_RSRC2:USER_SGPR: 15
; COMPUTE_PGM_RSRC2:TRAP_HANDLER: 0
; COMPUTE_PGM_RSRC2:TGID_X_EN: 1
; COMPUTE_PGM_RSRC2:TGID_Y_EN: 0
; COMPUTE_PGM_RSRC2:TGID_Z_EN: 0
; COMPUTE_PGM_RSRC2:TIDIG_COMP_CNT: 2
	.section	.text._ZN6thrust23THRUST_200600_302600_NS11hip_rocprim14__parallel_for6kernelILj256EZNS1_16__set_operations9doit_stepILb0ENS0_6detail15normal_iteratorINS0_10device_ptrIKiEEEESB_PiSC_lNS7_INS8_IiEEEESC_NS0_4lessIiEENS4_31serial_set_symmetric_differenceEEE10hipError_tPvRmT0_T1_T2_T3_T4_SP_T5_T6_PSP_T7_T8_P12ihipStream_tbEUllE_jLj1EEEvSL_SM_SM_,"axG",@progbits,_ZN6thrust23THRUST_200600_302600_NS11hip_rocprim14__parallel_for6kernelILj256EZNS1_16__set_operations9doit_stepILb0ENS0_6detail15normal_iteratorINS0_10device_ptrIKiEEEESB_PiSC_lNS7_INS8_IiEEEESC_NS0_4lessIiEENS4_31serial_set_symmetric_differenceEEE10hipError_tPvRmT0_T1_T2_T3_T4_SP_T5_T6_PSP_T7_T8_P12ihipStream_tbEUllE_jLj1EEEvSL_SM_SM_,comdat
	.protected	_ZN6thrust23THRUST_200600_302600_NS11hip_rocprim14__parallel_for6kernelILj256EZNS1_16__set_operations9doit_stepILb0ENS0_6detail15normal_iteratorINS0_10device_ptrIKiEEEESB_PiSC_lNS7_INS8_IiEEEESC_NS0_4lessIiEENS4_31serial_set_symmetric_differenceEEE10hipError_tPvRmT0_T1_T2_T3_T4_SP_T5_T6_PSP_T7_T8_P12ihipStream_tbEUllE_jLj1EEEvSL_SM_SM_ ; -- Begin function _ZN6thrust23THRUST_200600_302600_NS11hip_rocprim14__parallel_for6kernelILj256EZNS1_16__set_operations9doit_stepILb0ENS0_6detail15normal_iteratorINS0_10device_ptrIKiEEEESB_PiSC_lNS7_INS8_IiEEEESC_NS0_4lessIiEENS4_31serial_set_symmetric_differenceEEE10hipError_tPvRmT0_T1_T2_T3_T4_SP_T5_T6_PSP_T7_T8_P12ihipStream_tbEUllE_jLj1EEEvSL_SM_SM_
	.globl	_ZN6thrust23THRUST_200600_302600_NS11hip_rocprim14__parallel_for6kernelILj256EZNS1_16__set_operations9doit_stepILb0ENS0_6detail15normal_iteratorINS0_10device_ptrIKiEEEESB_PiSC_lNS7_INS8_IiEEEESC_NS0_4lessIiEENS4_31serial_set_symmetric_differenceEEE10hipError_tPvRmT0_T1_T2_T3_T4_SP_T5_T6_PSP_T7_T8_P12ihipStream_tbEUllE_jLj1EEEvSL_SM_SM_
	.p2align	8
	.type	_ZN6thrust23THRUST_200600_302600_NS11hip_rocprim14__parallel_for6kernelILj256EZNS1_16__set_operations9doit_stepILb0ENS0_6detail15normal_iteratorINS0_10device_ptrIKiEEEESB_PiSC_lNS7_INS8_IiEEEESC_NS0_4lessIiEENS4_31serial_set_symmetric_differenceEEE10hipError_tPvRmT0_T1_T2_T3_T4_SP_T5_T6_PSP_T7_T8_P12ihipStream_tbEUllE_jLj1EEEvSL_SM_SM_,@function
_ZN6thrust23THRUST_200600_302600_NS11hip_rocprim14__parallel_for6kernelILj256EZNS1_16__set_operations9doit_stepILb0ENS0_6detail15normal_iteratorINS0_10device_ptrIKiEEEESB_PiSC_lNS7_INS8_IiEEEESC_NS0_4lessIiEENS4_31serial_set_symmetric_differenceEEE10hipError_tPvRmT0_T1_T2_T3_T4_SP_T5_T6_PSP_T7_T8_P12ihipStream_tbEUllE_jLj1EEEvSL_SM_SM_: ; @_ZN6thrust23THRUST_200600_302600_NS11hip_rocprim14__parallel_for6kernelILj256EZNS1_16__set_operations9doit_stepILb0ENS0_6detail15normal_iteratorINS0_10device_ptrIKiEEEESB_PiSC_lNS7_INS8_IiEEEESC_NS0_4lessIiEENS4_31serial_set_symmetric_differenceEEE10hipError_tPvRmT0_T1_T2_T3_T4_SP_T5_T6_PSP_T7_T8_P12ihipStream_tbEUllE_jLj1EEEvSL_SM_SM_
; %bb.0:
	s_clause 0x2
	s_load_b64 s[12:13], s[0:1], 0x30
	s_load_b64 s[2:3], s[0:1], 0x20
	s_load_b256 s[4:11], s[0:1], 0x0
	s_lshl_b32 s1, s15, 8
	s_waitcnt lgkmcnt(0)
	s_add_i32 s1, s1, s13
	s_delay_alu instid0(SALU_CYCLE_1) | instskip(NEXT) | instid1(SALU_CYCLE_1)
	s_sub_i32 s0, s12, s1
	s_cmpk_lt_u32 s0, 0x100
	s_cbranch_scc0 .LBB26_12
; %bb.1:
	v_cmp_gt_u32_e32 vcc_lo, s0, v0
	s_mov_b32 s12, 0
	s_mov_b32 s0, 0
                                        ; implicit-def: $vgpr3_vgpr4
                                        ; implicit-def: $vgpr5_vgpr6
	s_and_saveexec_b32 s13, vcc_lo
	s_cbranch_execz .LBB26_13
; %bb.2:
	v_add_nc_u32_e32 v5, s1, v0
	s_add_u32 s14, s6, s4
	s_addc_u32 s15, s7, s5
	v_mov_b32_e32 v6, 0
	s_delay_alu instid0(VALU_DEP_2) | instskip(NEXT) | instid1(VALU_DEP_1)
	v_mad_u64_u32 v[1:2], null, 0xfff, v5, 0
	v_cmp_lt_i64_e32 vcc_lo, s[14:15], v[1:2]
	v_cndmask_b32_e64 v3, v1, s14, vcc_lo
	v_cndmask_b32_e64 v4, v2, s15, vcc_lo
	s_mov_b32 s14, 0
	s_delay_alu instid0(VALU_DEP_2) | instskip(NEXT) | instid1(VALU_DEP_2)
	v_sub_co_u32 v1, vcc_lo, v3, s6
	v_subrev_co_ci_u32_e32 v2, vcc_lo, s7, v4, vcc_lo
	v_cmp_lt_i64_e64 s0, s[4:5], v[3:4]
	s_delay_alu instid0(VALU_DEP_2) | instskip(NEXT) | instid1(VALU_DEP_2)
	v_cmp_lt_i64_e32 vcc_lo, 0, v[1:2]
	v_cndmask_b32_e64 v8, v4, s5, s0
	v_cndmask_b32_e64 v7, v3, s4, s0
	s_mov_b32 s0, exec_lo
	v_dual_cndmask_b32 v2, 0, v2 :: v_dual_cndmask_b32 v1, 0, v1
	s_delay_alu instid0(VALU_DEP_1)
	v_cmpx_lt_i64_e64 v[1:2], v[7:8]
	s_cbranch_execz .LBB26_6
; %bb.3:
	v_lshlrev_b64 v[9:10], 2, v[3:4]
	s_delay_alu instid0(VALU_DEP_1) | instskip(NEXT) | instid1(VALU_DEP_2)
	v_add_co_u32 v9, vcc_lo, s2, v9
	v_add_co_ci_u32_e32 v10, vcc_lo, s3, v10, vcc_lo
	s_set_inst_prefetch_distance 0x1
	.p2align	6
.LBB26_4:                               ; =>This Inner Loop Header: Depth=1
	v_add_co_u32 v11, vcc_lo, v7, v1
	v_add_co_ci_u32_e32 v12, vcc_lo, v8, v2, vcc_lo
	s_delay_alu instid0(VALU_DEP_1) | instskip(NEXT) | instid1(VALU_DEP_1)
	v_ashrrev_i64 v[11:12], 1, v[11:12]
	v_not_b32_e32 v14, v12
	s_delay_alu instid0(VALU_DEP_2) | instskip(SKIP_1) | instid1(VALU_DEP_2)
	v_not_b32_e32 v13, v11
	v_lshlrev_b64 v[15:16], 2, v[11:12]
	v_lshlrev_b64 v[13:14], 2, v[13:14]
	s_delay_alu instid0(VALU_DEP_2) | instskip(NEXT) | instid1(VALU_DEP_3)
	v_add_co_u32 v15, vcc_lo, s10, v15
	v_add_co_ci_u32_e32 v16, vcc_lo, s11, v16, vcc_lo
	s_delay_alu instid0(VALU_DEP_3) | instskip(NEXT) | instid1(VALU_DEP_4)
	v_add_co_u32 v13, vcc_lo, v9, v13
	v_add_co_ci_u32_e32 v14, vcc_lo, v10, v14, vcc_lo
	global_load_b32 v15, v[15:16], off
	global_load_b32 v13, v[13:14], off
	v_add_co_u32 v14, vcc_lo, v11, 1
	v_add_co_ci_u32_e32 v16, vcc_lo, 0, v12, vcc_lo
	s_waitcnt vmcnt(0)
	v_cmp_lt_i32_e32 vcc_lo, v13, v15
	v_dual_cndmask_b32 v8, v8, v12 :: v_dual_cndmask_b32 v7, v7, v11
	s_delay_alu instid0(VALU_DEP_3) | instskip(NEXT) | instid1(VALU_DEP_1)
	v_dual_cndmask_b32 v2, v16, v2 :: v_dual_cndmask_b32 v1, v14, v1
	v_cmp_ge_i64_e32 vcc_lo, v[1:2], v[7:8]
	s_or_b32 s14, vcc_lo, s14
	s_delay_alu instid0(SALU_CYCLE_1)
	s_and_not1_b32 exec_lo, exec_lo, s14
	s_cbranch_execnz .LBB26_4
; %bb.5:
	s_set_inst_prefetch_distance 0x2
	s_or_b32 exec_lo, exec_lo, s14
.LBB26_6:
	s_delay_alu instid0(SALU_CYCLE_1)
	s_or_b32 exec_lo, exec_lo, s0
	v_sub_co_u32 v11, vcc_lo, v3, v1
	v_mov_b32_e32 v9, 0
	v_sub_co_ci_u32_e32 v12, vcc_lo, v4, v2, vcc_lo
	v_mov_b32_e32 v10, 0
	s_mov_b32 s14, exec_lo
	s_delay_alu instid0(VALU_DEP_2)
	v_cmpx_gt_i64_e64 s[6:7], v[11:12]
	s_cbranch_execz .LBB26_38
; %bb.7:
	v_lshlrev_b64 v[7:8], 2, v[11:12]
	s_mov_b32 s0, exec_lo
	v_dual_mov_b32 v14, v2 :: v_dual_mov_b32 v13, v1
	s_delay_alu instid0(VALU_DEP_2) | instskip(NEXT) | instid1(VALU_DEP_3)
	v_add_co_u32 v9, vcc_lo, s2, v7
	v_add_co_ci_u32_e32 v10, vcc_lo, s3, v8, vcc_lo
	v_mov_b32_e32 v7, 0
	v_mov_b32_e32 v8, 0
	global_load_b32 v19, v[9:10], off
	v_cmpx_lt_i64_e32 0, v[1:2]
	s_cbranch_execnz .LBB26_14
; %bb.8:
	s_or_b32 exec_lo, exec_lo, s0
	s_delay_alu instid0(SALU_CYCLE_1)
	s_mov_b32 s0, exec_lo
	v_cmpx_lt_i64_e64 v[7:8], v[13:14]
	s_cbranch_execnz .LBB26_15
.LBB26_9:
	s_or_b32 exec_lo, exec_lo, s0
	s_delay_alu instid0(SALU_CYCLE_1)
	s_mov_b32 s0, exec_lo
	v_cmpx_lt_i64_e64 v[7:8], v[13:14]
	s_cbranch_execnz .LBB26_16
.LBB26_10:
	s_or_b32 exec_lo, exec_lo, s0
	s_delay_alu instid0(SALU_CYCLE_1)
	s_mov_b32 s0, exec_lo
	v_cmpx_lt_i64_e64 v[7:8], v[13:14]
	s_cbranch_execnz .LBB26_17
.LBB26_11:
	s_or_b32 exec_lo, exec_lo, s0
	s_delay_alu instid0(SALU_CYCLE_1)
	s_mov_b32 s0, exec_lo
	v_cmpx_lt_i64_e64 v[7:8], v[13:14]
	s_cbranch_execnz .LBB26_18
	s_branch .LBB26_21
.LBB26_12:
	s_mov_b32 s0, 0
                                        ; implicit-def: $vgpr3_vgpr4
                                        ; implicit-def: $vgpr5_vgpr6
	s_cbranch_execnz .LBB26_39
	s_branch .LBB26_74
.LBB26_13:
	s_or_b32 exec_lo, exec_lo, s13
	s_delay_alu instid0(SALU_CYCLE_1)
	s_and_b32 vcc_lo, exec_lo, s12
	s_cbranch_vccnz .LBB26_39
	s_branch .LBB26_74
.LBB26_14:
	v_mad_u64_u32 v[7:8], null, 0x1ff, v1, 0
	s_delay_alu instid0(VALU_DEP_1) | instskip(NEXT) | instid1(VALU_DEP_1)
	v_mad_u64_u32 v[13:14], null, 0x1ff, v2, v[8:9]
	v_mov_b32_e32 v8, v13
	s_delay_alu instid0(VALU_DEP_1) | instskip(NEXT) | instid1(VALU_DEP_1)
	v_lshrrev_b64 v[13:14], 9, v[7:8]
	v_lshlrev_b64 v[7:8], 2, v[13:14]
	s_delay_alu instid0(VALU_DEP_1) | instskip(NEXT) | instid1(VALU_DEP_2)
	v_add_co_u32 v7, vcc_lo, s10, v7
	v_add_co_ci_u32_e32 v8, vcc_lo, s11, v8, vcc_lo
	v_add_co_u32 v15, vcc_lo, v13, 1
	global_load_b32 v7, v[7:8], off
	v_add_co_ci_u32_e32 v8, vcc_lo, 0, v14, vcc_lo
	s_waitcnt vmcnt(0)
	v_cmp_lt_i32_e32 vcc_lo, v7, v19
	s_delay_alu instid0(VALU_DEP_2) | instskip(SKIP_2) | instid1(SALU_CYCLE_1)
	v_dual_cndmask_b32 v7, 0, v15 :: v_dual_cndmask_b32 v8, 0, v8
	v_dual_cndmask_b32 v13, v13, v1 :: v_dual_cndmask_b32 v14, v14, v2
	s_or_b32 exec_lo, exec_lo, s0
	s_mov_b32 s0, exec_lo
	s_delay_alu instid0(VALU_DEP_1)
	v_cmpx_lt_i64_e64 v[7:8], v[13:14]
	s_cbranch_execz .LBB26_9
.LBB26_15:
	v_mad_u64_u32 v[15:16], null, 0x7f, v13, v[7:8]
	s_delay_alu instid0(VALU_DEP_1) | instskip(NEXT) | instid1(VALU_DEP_1)
	v_mad_u64_u32 v[17:18], null, 0x7f, v14, v[16:17]
	v_mov_b32_e32 v16, v17
	s_delay_alu instid0(VALU_DEP_1) | instskip(NEXT) | instid1(VALU_DEP_1)
	v_lshrrev_b64 v[15:16], 7, v[15:16]
	v_lshlrev_b64 v[17:18], 2, v[15:16]
	s_delay_alu instid0(VALU_DEP_1) | instskip(NEXT) | instid1(VALU_DEP_2)
	v_add_co_u32 v17, vcc_lo, s10, v17
	v_add_co_ci_u32_e32 v18, vcc_lo, s11, v18, vcc_lo
	global_load_b32 v17, v[17:18], off
	v_add_co_u32 v18, vcc_lo, v15, 1
	v_add_co_ci_u32_e32 v20, vcc_lo, 0, v16, vcc_lo
	s_waitcnt vmcnt(0)
	v_cmp_lt_i32_e32 vcc_lo, v17, v19
	s_delay_alu instid0(VALU_DEP_2) | instskip(SKIP_2) | instid1(SALU_CYCLE_1)
	v_dual_cndmask_b32 v7, v7, v18 :: v_dual_cndmask_b32 v8, v8, v20
	v_dual_cndmask_b32 v13, v15, v13 :: v_dual_cndmask_b32 v14, v16, v14
	s_or_b32 exec_lo, exec_lo, s0
	s_mov_b32 s0, exec_lo
	s_delay_alu instid0(VALU_DEP_1)
	v_cmpx_lt_i64_e64 v[7:8], v[13:14]
	s_cbranch_execz .LBB26_10
.LBB26_16:
	v_mad_u64_u32 v[15:16], null, v13, 31, v[7:8]
	s_delay_alu instid0(VALU_DEP_1) | instskip(NEXT) | instid1(VALU_DEP_1)
	v_mad_u64_u32 v[17:18], null, v14, 31, v[16:17]
	v_mov_b32_e32 v16, v17
	s_delay_alu instid0(VALU_DEP_1) | instskip(NEXT) | instid1(VALU_DEP_1)
	v_lshrrev_b64 v[15:16], 5, v[15:16]
	v_lshlrev_b64 v[17:18], 2, v[15:16]
	s_delay_alu instid0(VALU_DEP_1) | instskip(NEXT) | instid1(VALU_DEP_2)
	v_add_co_u32 v17, vcc_lo, s10, v17
	v_add_co_ci_u32_e32 v18, vcc_lo, s11, v18, vcc_lo
	global_load_b32 v17, v[17:18], off
	v_add_co_u32 v18, vcc_lo, v15, 1
	v_add_co_ci_u32_e32 v20, vcc_lo, 0, v16, vcc_lo
	s_waitcnt vmcnt(0)
	v_cmp_lt_i32_e32 vcc_lo, v17, v19
	s_delay_alu instid0(VALU_DEP_2) | instskip(SKIP_2) | instid1(SALU_CYCLE_1)
	v_dual_cndmask_b32 v7, v7, v18 :: v_dual_cndmask_b32 v8, v8, v20
	v_dual_cndmask_b32 v13, v15, v13 :: v_dual_cndmask_b32 v14, v16, v14
	s_or_b32 exec_lo, exec_lo, s0
	s_mov_b32 s0, exec_lo
	s_delay_alu instid0(VALU_DEP_1)
	v_cmpx_lt_i64_e64 v[7:8], v[13:14]
	s_cbranch_execz .LBB26_11
.LBB26_17:
	v_mad_u64_u32 v[15:16], null, v13, 15, v[7:8]
	s_delay_alu instid0(VALU_DEP_1) | instskip(NEXT) | instid1(VALU_DEP_1)
	v_mad_u64_u32 v[17:18], null, v14, 15, v[16:17]
	v_mov_b32_e32 v16, v17
	s_delay_alu instid0(VALU_DEP_1) | instskip(NEXT) | instid1(VALU_DEP_1)
	v_lshrrev_b64 v[15:16], 4, v[15:16]
	v_lshlrev_b64 v[17:18], 2, v[15:16]
	s_delay_alu instid0(VALU_DEP_1) | instskip(NEXT) | instid1(VALU_DEP_2)
	v_add_co_u32 v17, vcc_lo, s10, v17
	v_add_co_ci_u32_e32 v18, vcc_lo, s11, v18, vcc_lo
	global_load_b32 v17, v[17:18], off
	v_add_co_u32 v18, vcc_lo, v15, 1
	v_add_co_ci_u32_e32 v20, vcc_lo, 0, v16, vcc_lo
	s_waitcnt vmcnt(0)
	v_cmp_lt_i32_e32 vcc_lo, v17, v19
	s_delay_alu instid0(VALU_DEP_2) | instskip(SKIP_2) | instid1(SALU_CYCLE_1)
	v_dual_cndmask_b32 v7, v7, v18 :: v_dual_cndmask_b32 v8, v8, v20
	v_dual_cndmask_b32 v13, v15, v13 :: v_dual_cndmask_b32 v14, v16, v14
	s_or_b32 exec_lo, exec_lo, s0
	s_mov_b32 s0, exec_lo
	s_delay_alu instid0(VALU_DEP_1)
	v_cmpx_lt_i64_e64 v[7:8], v[13:14]
	s_cbranch_execz .LBB26_21
.LBB26_18:
	s_mov_b32 s15, 0
	.p2align	6
.LBB26_19:                              ; =>This Inner Loop Header: Depth=1
	v_add_co_u32 v15, vcc_lo, v7, v13
	v_add_co_ci_u32_e32 v16, vcc_lo, v8, v14, vcc_lo
	s_delay_alu instid0(VALU_DEP_1) | instskip(NEXT) | instid1(VALU_DEP_1)
	v_ashrrev_i64 v[15:16], 1, v[15:16]
	v_lshlrev_b64 v[17:18], 2, v[15:16]
	s_delay_alu instid0(VALU_DEP_1) | instskip(NEXT) | instid1(VALU_DEP_2)
	v_add_co_u32 v17, vcc_lo, s10, v17
	v_add_co_ci_u32_e32 v18, vcc_lo, s11, v18, vcc_lo
	global_load_b32 v17, v[17:18], off
	v_add_co_u32 v18, vcc_lo, v15, 1
	v_add_co_ci_u32_e32 v20, vcc_lo, 0, v16, vcc_lo
	s_waitcnt vmcnt(0)
	v_cmp_lt_i32_e32 vcc_lo, v17, v19
	s_delay_alu instid0(VALU_DEP_2) | instskip(SKIP_1) | instid1(VALU_DEP_1)
	v_dual_cndmask_b32 v8, v8, v20 :: v_dual_cndmask_b32 v7, v7, v18
	v_dual_cndmask_b32 v14, v16, v14 :: v_dual_cndmask_b32 v13, v15, v13
	v_cmp_ge_i64_e32 vcc_lo, v[7:8], v[13:14]
	s_or_b32 s15, vcc_lo, s15
	s_delay_alu instid0(SALU_CYCLE_1)
	s_and_not1_b32 exec_lo, exec_lo, s15
	s_cbranch_execnz .LBB26_19
; %bb.20:
	s_or_b32 exec_lo, exec_lo, s15
.LBB26_21:
	s_delay_alu instid0(SALU_CYCLE_1)
	s_or_b32 exec_lo, exec_lo, s0
	v_dual_mov_b32 v13, 0 :: v_dual_mov_b32 v16, v12
	v_dual_mov_b32 v14, 0 :: v_dual_mov_b32 v15, v11
	s_mov_b32 s0, exec_lo
	v_cmpx_lt_i64_e32 0, v[11:12]
	s_cbranch_execnz .LBB26_26
; %bb.22:
	s_or_b32 exec_lo, exec_lo, s0
	s_delay_alu instid0(SALU_CYCLE_1)
	s_mov_b32 s0, exec_lo
	v_cmpx_lt_i64_e64 v[13:14], v[15:16]
	s_cbranch_execnz .LBB26_27
.LBB26_23:
	s_or_b32 exec_lo, exec_lo, s0
	s_delay_alu instid0(SALU_CYCLE_1)
	s_mov_b32 s0, exec_lo
	v_cmpx_lt_i64_e64 v[13:14], v[15:16]
	s_cbranch_execnz .LBB26_28
.LBB26_24:
	s_or_b32 exec_lo, exec_lo, s0
	s_delay_alu instid0(SALU_CYCLE_1)
	s_mov_b32 s0, exec_lo
	v_cmpx_lt_i64_e64 v[13:14], v[15:16]
	s_cbranch_execnz .LBB26_29
.LBB26_25:
	s_or_b32 exec_lo, exec_lo, s0
	s_delay_alu instid0(SALU_CYCLE_1)
	s_mov_b32 s0, exec_lo
	v_cmpx_lt_i64_e64 v[13:14], v[15:16]
	s_cbranch_execnz .LBB26_30
	s_branch .LBB26_33
.LBB26_26:
	v_mad_u64_u32 v[13:14], null, 0x1ff, v11, 0
	s_delay_alu instid0(VALU_DEP_1) | instskip(NEXT) | instid1(VALU_DEP_1)
	v_mad_u64_u32 v[15:16], null, 0x1ff, v12, v[14:15]
	v_mov_b32_e32 v14, v15
	s_delay_alu instid0(VALU_DEP_1) | instskip(NEXT) | instid1(VALU_DEP_1)
	v_lshrrev_b64 v[15:16], 9, v[13:14]
	v_lshlrev_b64 v[13:14], 2, v[15:16]
	s_delay_alu instid0(VALU_DEP_1) | instskip(NEXT) | instid1(VALU_DEP_2)
	v_add_co_u32 v13, vcc_lo, s2, v13
	v_add_co_ci_u32_e32 v14, vcc_lo, s3, v14, vcc_lo
	v_add_co_u32 v17, vcc_lo, v15, 1
	global_load_b32 v13, v[13:14], off
	v_add_co_ci_u32_e32 v14, vcc_lo, 0, v16, vcc_lo
	s_waitcnt vmcnt(0)
	v_cmp_lt_i32_e32 vcc_lo, v13, v19
	s_delay_alu instid0(VALU_DEP_2) | instskip(SKIP_2) | instid1(SALU_CYCLE_1)
	v_dual_cndmask_b32 v13, 0, v17 :: v_dual_cndmask_b32 v14, 0, v14
	v_dual_cndmask_b32 v15, v15, v11 :: v_dual_cndmask_b32 v16, v16, v12
	s_or_b32 exec_lo, exec_lo, s0
	s_mov_b32 s0, exec_lo
	s_delay_alu instid0(VALU_DEP_1)
	v_cmpx_lt_i64_e64 v[13:14], v[15:16]
	s_cbranch_execz .LBB26_23
.LBB26_27:
	v_mad_u64_u32 v[17:18], null, 0x7f, v15, v[13:14]
	s_waitcnt vmcnt(0)
	s_delay_alu instid0(VALU_DEP_1) | instskip(NEXT) | instid1(VALU_DEP_1)
	v_mad_u64_u32 v[20:21], null, 0x7f, v16, v[18:19]
	v_mov_b32_e32 v18, v20
	s_delay_alu instid0(VALU_DEP_1) | instskip(NEXT) | instid1(VALU_DEP_1)
	v_lshrrev_b64 v[17:18], 7, v[17:18]
	v_lshlrev_b64 v[20:21], 2, v[17:18]
	s_delay_alu instid0(VALU_DEP_1) | instskip(NEXT) | instid1(VALU_DEP_2)
	v_add_co_u32 v20, vcc_lo, s2, v20
	v_add_co_ci_u32_e32 v21, vcc_lo, s3, v21, vcc_lo
	global_load_b32 v20, v[20:21], off
	v_add_co_u32 v21, vcc_lo, v17, 1
	v_add_co_ci_u32_e32 v22, vcc_lo, 0, v18, vcc_lo
	s_waitcnt vmcnt(0)
	v_cmp_lt_i32_e32 vcc_lo, v20, v19
	s_delay_alu instid0(VALU_DEP_2) | instskip(SKIP_2) | instid1(SALU_CYCLE_1)
	v_dual_cndmask_b32 v13, v13, v21 :: v_dual_cndmask_b32 v14, v14, v22
	v_dual_cndmask_b32 v15, v17, v15 :: v_dual_cndmask_b32 v16, v18, v16
	s_or_b32 exec_lo, exec_lo, s0
	s_mov_b32 s0, exec_lo
	s_delay_alu instid0(VALU_DEP_1)
	v_cmpx_lt_i64_e64 v[13:14], v[15:16]
	s_cbranch_execz .LBB26_24
.LBB26_28:
	v_mad_u64_u32 v[17:18], null, v15, 31, v[13:14]
	s_waitcnt vmcnt(0)
	s_delay_alu instid0(VALU_DEP_1) | instskip(NEXT) | instid1(VALU_DEP_1)
	v_mad_u64_u32 v[20:21], null, v16, 31, v[18:19]
	v_mov_b32_e32 v18, v20
	s_delay_alu instid0(VALU_DEP_1) | instskip(NEXT) | instid1(VALU_DEP_1)
	v_lshrrev_b64 v[17:18], 5, v[17:18]
	v_lshlrev_b64 v[20:21], 2, v[17:18]
	s_delay_alu instid0(VALU_DEP_1) | instskip(NEXT) | instid1(VALU_DEP_2)
	v_add_co_u32 v20, vcc_lo, s2, v20
	v_add_co_ci_u32_e32 v21, vcc_lo, s3, v21, vcc_lo
	global_load_b32 v20, v[20:21], off
	v_add_co_u32 v21, vcc_lo, v17, 1
	v_add_co_ci_u32_e32 v22, vcc_lo, 0, v18, vcc_lo
	s_waitcnt vmcnt(0)
	v_cmp_lt_i32_e32 vcc_lo, v20, v19
	s_delay_alu instid0(VALU_DEP_2) | instskip(SKIP_2) | instid1(SALU_CYCLE_1)
	v_dual_cndmask_b32 v13, v13, v21 :: v_dual_cndmask_b32 v14, v14, v22
	v_dual_cndmask_b32 v15, v17, v15 :: v_dual_cndmask_b32 v16, v18, v16
	s_or_b32 exec_lo, exec_lo, s0
	s_mov_b32 s0, exec_lo
	s_delay_alu instid0(VALU_DEP_1)
	v_cmpx_lt_i64_e64 v[13:14], v[15:16]
	s_cbranch_execz .LBB26_25
.LBB26_29:
	v_mad_u64_u32 v[17:18], null, v15, 15, v[13:14]
	s_waitcnt vmcnt(0)
	s_delay_alu instid0(VALU_DEP_1) | instskip(NEXT) | instid1(VALU_DEP_1)
	v_mad_u64_u32 v[20:21], null, v16, 15, v[18:19]
	v_mov_b32_e32 v18, v20
	s_delay_alu instid0(VALU_DEP_1) | instskip(NEXT) | instid1(VALU_DEP_1)
	v_lshrrev_b64 v[17:18], 4, v[17:18]
	v_lshlrev_b64 v[20:21], 2, v[17:18]
	s_delay_alu instid0(VALU_DEP_1) | instskip(NEXT) | instid1(VALU_DEP_2)
	v_add_co_u32 v20, vcc_lo, s2, v20
	v_add_co_ci_u32_e32 v21, vcc_lo, s3, v21, vcc_lo
	global_load_b32 v20, v[20:21], off
	v_add_co_u32 v21, vcc_lo, v17, 1
	v_add_co_ci_u32_e32 v22, vcc_lo, 0, v18, vcc_lo
	s_waitcnt vmcnt(0)
	v_cmp_lt_i32_e32 vcc_lo, v20, v19
	s_delay_alu instid0(VALU_DEP_2) | instskip(SKIP_2) | instid1(SALU_CYCLE_1)
	v_dual_cndmask_b32 v13, v13, v21 :: v_dual_cndmask_b32 v14, v14, v22
	v_dual_cndmask_b32 v15, v17, v15 :: v_dual_cndmask_b32 v16, v18, v16
	s_or_b32 exec_lo, exec_lo, s0
	s_mov_b32 s0, exec_lo
	s_delay_alu instid0(VALU_DEP_1)
	v_cmpx_lt_i64_e64 v[13:14], v[15:16]
	s_cbranch_execz .LBB26_33
.LBB26_30:
	s_mov_b32 s15, 0
	.p2align	6
.LBB26_31:                              ; =>This Inner Loop Header: Depth=1
	v_add_co_u32 v17, vcc_lo, v13, v15
	v_add_co_ci_u32_e32 v18, vcc_lo, v14, v16, vcc_lo
	s_delay_alu instid0(VALU_DEP_1) | instskip(NEXT) | instid1(VALU_DEP_1)
	v_ashrrev_i64 v[17:18], 1, v[17:18]
	v_lshlrev_b64 v[20:21], 2, v[17:18]
	s_delay_alu instid0(VALU_DEP_1) | instskip(NEXT) | instid1(VALU_DEP_2)
	v_add_co_u32 v20, vcc_lo, s2, v20
	v_add_co_ci_u32_e32 v21, vcc_lo, s3, v21, vcc_lo
	global_load_b32 v20, v[20:21], off
	v_add_co_u32 v21, vcc_lo, v17, 1
	v_add_co_ci_u32_e32 v22, vcc_lo, 0, v18, vcc_lo
	s_waitcnt vmcnt(0)
	v_cmp_lt_i32_e32 vcc_lo, v20, v19
	s_delay_alu instid0(VALU_DEP_2) | instskip(SKIP_1) | instid1(VALU_DEP_1)
	v_dual_cndmask_b32 v14, v14, v22 :: v_dual_cndmask_b32 v13, v13, v21
	v_dual_cndmask_b32 v16, v18, v16 :: v_dual_cndmask_b32 v15, v17, v15
	v_cmp_ge_i64_e32 vcc_lo, v[13:14], v[15:16]
	s_or_b32 s15, vcc_lo, s15
	s_delay_alu instid0(SALU_CYCLE_1)
	s_and_not1_b32 exec_lo, exec_lo, s15
	s_cbranch_execnz .LBB26_31
; %bb.32:
	s_or_b32 exec_lo, exec_lo, s15
.LBB26_33:
	s_delay_alu instid0(SALU_CYCLE_1)
	s_or_b32 exec_lo, exec_lo, s0
	v_sub_co_u32 v1, vcc_lo, v1, v7
	v_sub_co_ci_u32_e32 v2, vcc_lo, v2, v8, vcc_lo
	v_sub_co_u32 v17, vcc_lo, v11, v13
	v_sub_co_ci_u32_e32 v18, vcc_lo, v12, v14, vcc_lo
	s_mov_b32 s0, exec_lo
	s_delay_alu instid0(VALU_DEP_2) | instskip(NEXT) | instid1(VALU_DEP_2)
	v_add_co_u32 v15, vcc_lo, v17, v1
	v_add_co_ci_u32_e32 v16, vcc_lo, v18, v2, vcc_lo
	s_delay_alu instid0(VALU_DEP_1) | instskip(NEXT) | instid1(VALU_DEP_1)
	v_ashrrev_i64 v[1:2], 1, v[15:16]
	v_cmp_gt_i64_e32 vcc_lo, v[1:2], v[17:18]
	v_dual_cndmask_b32 v2, v18, v2 :: v_dual_cndmask_b32 v1, v17, v1
	s_delay_alu instid0(VALU_DEP_1) | instskip(NEXT) | instid1(VALU_DEP_2)
	v_add_co_u32 v13, vcc_lo, v13, v1
	v_add_co_ci_u32_e32 v14, vcc_lo, v14, v2, vcc_lo
	s_delay_alu instid0(VALU_DEP_2) | instskip(NEXT) | instid1(VALU_DEP_2)
	v_add_co_u32 v13, vcc_lo, v13, 1
	v_add_co_ci_u32_e32 v14, vcc_lo, 0, v14, vcc_lo
	s_delay_alu instid0(VALU_DEP_1) | instskip(SKIP_2) | instid1(VALU_DEP_2)
	v_cmp_gt_i64_e32 vcc_lo, s[6:7], v[13:14]
	v_cndmask_b32_e32 v13, s6, v13, vcc_lo
	v_cndmask_b32_e32 v14, s7, v14, vcc_lo
	v_sub_co_u32 v13, vcc_lo, v13, v11
	s_delay_alu instid0(VALU_DEP_2) | instskip(SKIP_2) | instid1(VALU_DEP_3)
	v_sub_co_ci_u32_e32 v14, vcc_lo, v14, v12, vcc_lo
	v_mov_b32_e32 v11, 0
	v_mov_b32_e32 v12, 0
	v_cmpx_lt_i64_e32 0, v[13:14]
	s_cbranch_execz .LBB26_37
; %bb.34:
	v_mov_b32_e32 v11, 0
	v_mov_b32_e32 v12, 0
	s_mov_b32 s15, 0
	.p2align	6
.LBB26_35:                              ; =>This Inner Loop Header: Depth=1
	s_delay_alu instid0(VALU_DEP_2) | instskip(NEXT) | instid1(VALU_DEP_2)
	v_add_co_u32 v20, vcc_lo, v11, v13
	v_add_co_ci_u32_e32 v21, vcc_lo, v12, v14, vcc_lo
	s_delay_alu instid0(VALU_DEP_1) | instskip(NEXT) | instid1(VALU_DEP_1)
	v_ashrrev_i64 v[20:21], 1, v[20:21]
	v_lshlrev_b64 v[22:23], 2, v[20:21]
	s_delay_alu instid0(VALU_DEP_1) | instskip(NEXT) | instid1(VALU_DEP_2)
	v_add_co_u32 v22, vcc_lo, v9, v22
	v_add_co_ci_u32_e32 v23, vcc_lo, v10, v23, vcc_lo
	global_load_b32 v22, v[22:23], off
	v_add_co_u32 v23, vcc_lo, v20, 1
	v_add_co_ci_u32_e32 v24, vcc_lo, 0, v21, vcc_lo
	s_waitcnt vmcnt(0)
	v_cmp_gt_i32_e32 vcc_lo, v22, v19
	s_delay_alu instid0(VALU_DEP_2) | instskip(SKIP_1) | instid1(VALU_DEP_1)
	v_dual_cndmask_b32 v12, v24, v12 :: v_dual_cndmask_b32 v11, v23, v11
	v_dual_cndmask_b32 v14, v14, v21 :: v_dual_cndmask_b32 v13, v13, v20
	v_cmp_ge_i64_e32 vcc_lo, v[11:12], v[13:14]
	s_or_b32 s15, vcc_lo, s15
	s_delay_alu instid0(SALU_CYCLE_1)
	s_and_not1_b32 exec_lo, exec_lo, s15
	s_cbranch_execnz .LBB26_35
; %bb.36:
	s_or_b32 exec_lo, exec_lo, s15
	v_ashrrev_i32_e32 v12, 31, v11
.LBB26_37:
	s_or_b32 exec_lo, exec_lo, s0
	v_add_co_u32 v9, vcc_lo, v11, v17
	s_delay_alu instid0(VALU_DEP_2) | instskip(SKIP_1) | instid1(VALU_DEP_1)
	v_add_co_ci_u32_e32 v10, vcc_lo, v12, v18, vcc_lo
	s_mov_b32 s15, 0
	v_cmp_lt_i64_e32 vcc_lo, v[9:10], v[1:2]
	v_dual_cndmask_b32 v14, v2, v10 :: v_dual_cndmask_b32 v13, v1, v9
	s_delay_alu instid0(VALU_DEP_1) | instskip(NEXT) | instid1(VALU_DEP_2)
	v_sub_co_u32 v11, vcc_lo, v15, v13
	v_sub_co_ci_u32_e32 v12, vcc_lo, v16, v14, vcc_lo
	v_add_co_u32 v13, vcc_lo, v13, 1
	v_add_co_ci_u32_e32 v14, vcc_lo, 0, v14, vcc_lo
	v_cmp_lt_i64_e32 vcc_lo, v[1:2], v[9:10]
	v_mov_b32_e32 v10, s15
	s_delay_alu instid0(VALU_DEP_3) | instskip(NEXT) | instid1(VALU_DEP_1)
	v_cmp_eq_u64_e64 s0, v[11:12], v[13:14]
	s_and_b32 s0, s0, vcc_lo
	v_add_co_u32 v1, vcc_lo, v11, v7
	v_cndmask_b32_e64 v9, 0, 1, s0
	v_add_co_ci_u32_e32 v2, vcc_lo, v12, v8, vcc_lo
.LBB26_38:
	s_or_b32 exec_lo, exec_lo, s14
	s_delay_alu instid0(VALU_DEP_2) | instskip(SKIP_2) | instid1(VALU_DEP_2)
	v_add_co_u32 v3, vcc_lo, v9, v3
	v_add_co_ci_u32_e32 v4, vcc_lo, v10, v4, vcc_lo
	s_mov_b32 s0, exec_lo
	v_sub_co_u32 v3, vcc_lo, v3, v1
	s_delay_alu instid0(VALU_DEP_2) | instskip(SKIP_1) | instid1(SALU_CYCLE_1)
	v_sub_co_ci_u32_e32 v4, vcc_lo, v4, v2, vcc_lo
	s_or_b32 exec_lo, exec_lo, s13
	s_and_b32 vcc_lo, exec_lo, s12
	s_cbranch_vccz .LBB26_74
.LBB26_39:
	v_add_nc_u32_e32 v5, s1, v0
	s_add_u32 s0, s6, s4
	s_addc_u32 s1, s7, s5
	v_mov_b32_e32 v6, 0
	s_delay_alu instid0(VALU_DEP_2) | instskip(NEXT) | instid1(VALU_DEP_1)
	v_mad_u64_u32 v[0:1], null, 0xfff, v5, 0
	v_cmp_lt_i64_e32 vcc_lo, s[0:1], v[0:1]
	v_cndmask_b32_e64 v3, v0, s0, vcc_lo
	v_cndmask_b32_e64 v4, v1, s1, vcc_lo
	s_mov_b32 s1, 0
	s_delay_alu instid0(VALU_DEP_2) | instskip(NEXT) | instid1(VALU_DEP_2)
	v_sub_co_u32 v0, vcc_lo, v3, s6
	v_subrev_co_ci_u32_e32 v1, vcc_lo, s7, v4, vcc_lo
	v_cmp_lt_i64_e64 s0, s[4:5], v[3:4]
	s_delay_alu instid0(VALU_DEP_2) | instskip(NEXT) | instid1(VALU_DEP_2)
	v_cmp_lt_i64_e32 vcc_lo, 0, v[0:1]
	v_cndmask_b32_e64 v8, v4, s5, s0
	v_cndmask_b32_e64 v7, v3, s4, s0
	s_mov_b32 s0, exec_lo
	v_dual_cndmask_b32 v2, 0, v1 :: v_dual_cndmask_b32 v1, 0, v0
	s_delay_alu instid0(VALU_DEP_1)
	v_cmpx_lt_i64_e64 v[1:2], v[7:8]
	s_cbranch_execz .LBB26_43
; %bb.40:
	v_lshlrev_b64 v[9:10], 2, v[3:4]
	s_delay_alu instid0(VALU_DEP_1) | instskip(NEXT) | instid1(VALU_DEP_2)
	v_add_co_u32 v0, vcc_lo, s2, v9
	v_add_co_ci_u32_e32 v9, vcc_lo, s3, v10, vcc_lo
	s_set_inst_prefetch_distance 0x1
	.p2align	6
.LBB26_41:                              ; =>This Inner Loop Header: Depth=1
	v_add_co_u32 v10, vcc_lo, v7, v1
	v_add_co_ci_u32_e32 v11, vcc_lo, v8, v2, vcc_lo
	s_delay_alu instid0(VALU_DEP_1) | instskip(NEXT) | instid1(VALU_DEP_1)
	v_ashrrev_i64 v[10:11], 1, v[10:11]
	v_not_b32_e32 v13, v11
	s_delay_alu instid0(VALU_DEP_2) | instskip(SKIP_1) | instid1(VALU_DEP_2)
	v_not_b32_e32 v12, v10
	v_lshlrev_b64 v[14:15], 2, v[10:11]
	v_lshlrev_b64 v[12:13], 2, v[12:13]
	s_delay_alu instid0(VALU_DEP_2) | instskip(NEXT) | instid1(VALU_DEP_3)
	v_add_co_u32 v14, vcc_lo, s10, v14
	v_add_co_ci_u32_e32 v15, vcc_lo, s11, v15, vcc_lo
	s_delay_alu instid0(VALU_DEP_3) | instskip(NEXT) | instid1(VALU_DEP_4)
	v_add_co_u32 v12, vcc_lo, v0, v12
	v_add_co_ci_u32_e32 v13, vcc_lo, v9, v13, vcc_lo
	global_load_b32 v14, v[14:15], off
	global_load_b32 v12, v[12:13], off
	v_add_co_u32 v13, vcc_lo, v10, 1
	v_add_co_ci_u32_e32 v15, vcc_lo, 0, v11, vcc_lo
	s_waitcnt vmcnt(0)
	v_cmp_lt_i32_e32 vcc_lo, v12, v14
	v_dual_cndmask_b32 v8, v8, v11 :: v_dual_cndmask_b32 v7, v7, v10
	s_delay_alu instid0(VALU_DEP_3) | instskip(NEXT) | instid1(VALU_DEP_1)
	v_dual_cndmask_b32 v2, v15, v2 :: v_dual_cndmask_b32 v1, v13, v1
	v_cmp_ge_i64_e32 vcc_lo, v[1:2], v[7:8]
	s_or_b32 s1, vcc_lo, s1
	s_delay_alu instid0(SALU_CYCLE_1)
	s_and_not1_b32 exec_lo, exec_lo, s1
	s_cbranch_execnz .LBB26_41
; %bb.42:
	s_set_inst_prefetch_distance 0x2
	s_or_b32 exec_lo, exec_lo, s1
.LBB26_43:
	s_delay_alu instid0(SALU_CYCLE_1)
	s_or_b32 exec_lo, exec_lo, s0
	v_sub_co_u32 v11, vcc_lo, v3, v1
	v_mov_b32_e32 v9, 0
	v_sub_co_ci_u32_e32 v12, vcc_lo, v4, v2, vcc_lo
	v_mov_b32_e32 v10, 0
	s_mov_b32 s1, exec_lo
	s_delay_alu instid0(VALU_DEP_2)
	v_cmpx_gt_i64_e64 s[6:7], v[11:12]
	s_cbranch_execz .LBB26_73
; %bb.44:
	v_lshlrev_b64 v[7:8], 2, v[11:12]
	s_mov_b32 s0, exec_lo
	v_dual_mov_b32 v14, v2 :: v_dual_mov_b32 v13, v1
	s_delay_alu instid0(VALU_DEP_2) | instskip(NEXT) | instid1(VALU_DEP_3)
	v_add_co_u32 v9, vcc_lo, s2, v7
	v_add_co_ci_u32_e32 v10, vcc_lo, s3, v8, vcc_lo
	v_mov_b32_e32 v7, 0
	v_mov_b32_e32 v8, 0
	global_load_b32 v19, v[9:10], off
	v_cmpx_lt_i64_e32 0, v[1:2]
	s_cbranch_execnz .LBB26_49
; %bb.45:
	s_or_b32 exec_lo, exec_lo, s0
	s_delay_alu instid0(SALU_CYCLE_1)
	s_mov_b32 s0, exec_lo
	v_cmpx_lt_i64_e64 v[7:8], v[13:14]
	s_cbranch_execnz .LBB26_50
.LBB26_46:
	s_or_b32 exec_lo, exec_lo, s0
	s_delay_alu instid0(SALU_CYCLE_1)
	s_mov_b32 s0, exec_lo
	v_cmpx_lt_i64_e64 v[7:8], v[13:14]
	s_cbranch_execnz .LBB26_51
.LBB26_47:
	s_or_b32 exec_lo, exec_lo, s0
	s_delay_alu instid0(SALU_CYCLE_1)
	s_mov_b32 s0, exec_lo
	v_cmpx_lt_i64_e64 v[7:8], v[13:14]
	s_cbranch_execnz .LBB26_52
.LBB26_48:
	s_or_b32 exec_lo, exec_lo, s0
	s_delay_alu instid0(SALU_CYCLE_1)
	s_mov_b32 s0, exec_lo
	v_cmpx_lt_i64_e64 v[7:8], v[13:14]
	s_cbranch_execnz .LBB26_53
	s_branch .LBB26_56
.LBB26_49:
	v_mad_u64_u32 v[7:8], null, 0x1ff, v1, 0
	s_delay_alu instid0(VALU_DEP_1) | instskip(NEXT) | instid1(VALU_DEP_1)
	v_mov_b32_e32 v0, v8
	v_mad_u64_u32 v[13:14], null, 0x1ff, v2, v[0:1]
	s_delay_alu instid0(VALU_DEP_1) | instskip(NEXT) | instid1(VALU_DEP_1)
	v_mov_b32_e32 v8, v13
	v_lshrrev_b64 v[13:14], 9, v[7:8]
	s_delay_alu instid0(VALU_DEP_1) | instskip(NEXT) | instid1(VALU_DEP_1)
	v_lshlrev_b64 v[7:8], 2, v[13:14]
	v_add_co_u32 v7, vcc_lo, s10, v7
	s_delay_alu instid0(VALU_DEP_2)
	v_add_co_ci_u32_e32 v8, vcc_lo, s11, v8, vcc_lo
	global_load_b32 v0, v[7:8], off
	v_add_co_u32 v7, vcc_lo, v13, 1
	v_add_co_ci_u32_e32 v8, vcc_lo, 0, v14, vcc_lo
	s_waitcnt vmcnt(0)
	v_cmp_lt_i32_e32 vcc_lo, v0, v19
	s_delay_alu instid0(VALU_DEP_2) | instskip(SKIP_2) | instid1(SALU_CYCLE_1)
	v_dual_cndmask_b32 v7, 0, v7 :: v_dual_cndmask_b32 v8, 0, v8
	v_dual_cndmask_b32 v13, v13, v1 :: v_dual_cndmask_b32 v14, v14, v2
	s_or_b32 exec_lo, exec_lo, s0
	s_mov_b32 s0, exec_lo
	s_delay_alu instid0(VALU_DEP_1)
	v_cmpx_lt_i64_e64 v[7:8], v[13:14]
	s_cbranch_execz .LBB26_46
.LBB26_50:
	v_mad_u64_u32 v[15:16], null, 0x7f, v13, v[7:8]
	s_delay_alu instid0(VALU_DEP_1) | instskip(NEXT) | instid1(VALU_DEP_1)
	v_mov_b32_e32 v0, v16
	v_mad_u64_u32 v[16:17], null, 0x7f, v14, v[0:1]
	s_delay_alu instid0(VALU_DEP_1) | instskip(NEXT) | instid1(VALU_DEP_1)
	v_lshrrev_b64 v[15:16], 7, v[15:16]
	v_lshlrev_b64 v[17:18], 2, v[15:16]
	s_delay_alu instid0(VALU_DEP_1) | instskip(NEXT) | instid1(VALU_DEP_2)
	v_add_co_u32 v17, vcc_lo, s10, v17
	v_add_co_ci_u32_e32 v18, vcc_lo, s11, v18, vcc_lo
	global_load_b32 v0, v[17:18], off
	v_add_co_u32 v17, vcc_lo, v15, 1
	v_add_co_ci_u32_e32 v18, vcc_lo, 0, v16, vcc_lo
	s_waitcnt vmcnt(0)
	v_cmp_lt_i32_e32 vcc_lo, v0, v19
	s_delay_alu instid0(VALU_DEP_2) | instskip(SKIP_2) | instid1(SALU_CYCLE_1)
	v_dual_cndmask_b32 v7, v7, v17 :: v_dual_cndmask_b32 v8, v8, v18
	v_dual_cndmask_b32 v13, v15, v13 :: v_dual_cndmask_b32 v14, v16, v14
	s_or_b32 exec_lo, exec_lo, s0
	s_mov_b32 s0, exec_lo
	s_delay_alu instid0(VALU_DEP_1)
	v_cmpx_lt_i64_e64 v[7:8], v[13:14]
	s_cbranch_execz .LBB26_47
.LBB26_51:
	v_mad_u64_u32 v[15:16], null, v13, 31, v[7:8]
	s_delay_alu instid0(VALU_DEP_1) | instskip(NEXT) | instid1(VALU_DEP_1)
	v_mov_b32_e32 v0, v16
	v_mad_u64_u32 v[16:17], null, v14, 31, v[0:1]
	s_delay_alu instid0(VALU_DEP_1) | instskip(NEXT) | instid1(VALU_DEP_1)
	v_lshrrev_b64 v[15:16], 5, v[15:16]
	v_lshlrev_b64 v[17:18], 2, v[15:16]
	s_delay_alu instid0(VALU_DEP_1) | instskip(NEXT) | instid1(VALU_DEP_2)
	v_add_co_u32 v17, vcc_lo, s10, v17
	v_add_co_ci_u32_e32 v18, vcc_lo, s11, v18, vcc_lo
	global_load_b32 v0, v[17:18], off
	v_add_co_u32 v17, vcc_lo, v15, 1
	v_add_co_ci_u32_e32 v18, vcc_lo, 0, v16, vcc_lo
	s_waitcnt vmcnt(0)
	v_cmp_lt_i32_e32 vcc_lo, v0, v19
	s_delay_alu instid0(VALU_DEP_2) | instskip(SKIP_2) | instid1(SALU_CYCLE_1)
	v_dual_cndmask_b32 v7, v7, v17 :: v_dual_cndmask_b32 v8, v8, v18
	v_dual_cndmask_b32 v13, v15, v13 :: v_dual_cndmask_b32 v14, v16, v14
	s_or_b32 exec_lo, exec_lo, s0
	s_mov_b32 s0, exec_lo
	s_delay_alu instid0(VALU_DEP_1)
	v_cmpx_lt_i64_e64 v[7:8], v[13:14]
	s_cbranch_execz .LBB26_48
.LBB26_52:
	v_mad_u64_u32 v[15:16], null, v13, 15, v[7:8]
	s_delay_alu instid0(VALU_DEP_1) | instskip(NEXT) | instid1(VALU_DEP_1)
	v_mov_b32_e32 v0, v16
	v_mad_u64_u32 v[16:17], null, v14, 15, v[0:1]
	s_delay_alu instid0(VALU_DEP_1) | instskip(NEXT) | instid1(VALU_DEP_1)
	v_lshrrev_b64 v[15:16], 4, v[15:16]
	v_lshlrev_b64 v[17:18], 2, v[15:16]
	s_delay_alu instid0(VALU_DEP_1) | instskip(NEXT) | instid1(VALU_DEP_2)
	v_add_co_u32 v17, vcc_lo, s10, v17
	v_add_co_ci_u32_e32 v18, vcc_lo, s11, v18, vcc_lo
	global_load_b32 v0, v[17:18], off
	v_add_co_u32 v17, vcc_lo, v15, 1
	v_add_co_ci_u32_e32 v18, vcc_lo, 0, v16, vcc_lo
	s_waitcnt vmcnt(0)
	v_cmp_lt_i32_e32 vcc_lo, v0, v19
	s_delay_alu instid0(VALU_DEP_2) | instskip(SKIP_2) | instid1(SALU_CYCLE_1)
	v_dual_cndmask_b32 v7, v7, v17 :: v_dual_cndmask_b32 v8, v8, v18
	v_dual_cndmask_b32 v13, v15, v13 :: v_dual_cndmask_b32 v14, v16, v14
	s_or_b32 exec_lo, exec_lo, s0
	s_mov_b32 s0, exec_lo
	s_delay_alu instid0(VALU_DEP_1)
	v_cmpx_lt_i64_e64 v[7:8], v[13:14]
	s_cbranch_execz .LBB26_56
.LBB26_53:
	s_mov_b32 s4, 0
	.p2align	6
.LBB26_54:                              ; =>This Inner Loop Header: Depth=1
	v_add_co_u32 v15, vcc_lo, v7, v13
	v_add_co_ci_u32_e32 v16, vcc_lo, v8, v14, vcc_lo
	s_delay_alu instid0(VALU_DEP_1) | instskip(NEXT) | instid1(VALU_DEP_1)
	v_ashrrev_i64 v[15:16], 1, v[15:16]
	v_lshlrev_b64 v[17:18], 2, v[15:16]
	s_delay_alu instid0(VALU_DEP_1) | instskip(NEXT) | instid1(VALU_DEP_2)
	v_add_co_u32 v17, vcc_lo, s10, v17
	v_add_co_ci_u32_e32 v18, vcc_lo, s11, v18, vcc_lo
	global_load_b32 v0, v[17:18], off
	v_add_co_u32 v17, vcc_lo, v15, 1
	v_add_co_ci_u32_e32 v18, vcc_lo, 0, v16, vcc_lo
	s_waitcnt vmcnt(0)
	v_cmp_lt_i32_e32 vcc_lo, v0, v19
	s_delay_alu instid0(VALU_DEP_2) | instskip(SKIP_1) | instid1(VALU_DEP_1)
	v_dual_cndmask_b32 v8, v8, v18 :: v_dual_cndmask_b32 v7, v7, v17
	v_dual_cndmask_b32 v14, v16, v14 :: v_dual_cndmask_b32 v13, v15, v13
	v_cmp_ge_i64_e32 vcc_lo, v[7:8], v[13:14]
	s_or_b32 s4, vcc_lo, s4
	s_delay_alu instid0(SALU_CYCLE_1)
	s_and_not1_b32 exec_lo, exec_lo, s4
	s_cbranch_execnz .LBB26_54
; %bb.55:
	s_or_b32 exec_lo, exec_lo, s4
.LBB26_56:
	s_delay_alu instid0(SALU_CYCLE_1)
	s_or_b32 exec_lo, exec_lo, s0
	v_dual_mov_b32 v13, 0 :: v_dual_mov_b32 v16, v12
	v_dual_mov_b32 v14, 0 :: v_dual_mov_b32 v15, v11
	s_mov_b32 s0, exec_lo
	v_cmpx_lt_i64_e32 0, v[11:12]
	s_cbranch_execnz .LBB26_61
; %bb.57:
	s_or_b32 exec_lo, exec_lo, s0
	s_delay_alu instid0(SALU_CYCLE_1)
	s_mov_b32 s0, exec_lo
	v_cmpx_lt_i64_e64 v[13:14], v[15:16]
	s_cbranch_execnz .LBB26_62
.LBB26_58:
	s_or_b32 exec_lo, exec_lo, s0
	s_delay_alu instid0(SALU_CYCLE_1)
	s_mov_b32 s0, exec_lo
	v_cmpx_lt_i64_e64 v[13:14], v[15:16]
	s_cbranch_execnz .LBB26_63
.LBB26_59:
	s_or_b32 exec_lo, exec_lo, s0
	s_delay_alu instid0(SALU_CYCLE_1)
	s_mov_b32 s0, exec_lo
	v_cmpx_lt_i64_e64 v[13:14], v[15:16]
	s_cbranch_execnz .LBB26_64
.LBB26_60:
	s_or_b32 exec_lo, exec_lo, s0
	s_delay_alu instid0(SALU_CYCLE_1)
	s_mov_b32 s0, exec_lo
	v_cmpx_lt_i64_e64 v[13:14], v[15:16]
	s_cbranch_execnz .LBB26_65
	s_branch .LBB26_68
.LBB26_61:
	v_mad_u64_u32 v[13:14], null, 0x1ff, v11, 0
	s_delay_alu instid0(VALU_DEP_1) | instskip(NEXT) | instid1(VALU_DEP_1)
	v_mov_b32_e32 v0, v14
	v_mad_u64_u32 v[14:15], null, 0x1ff, v12, v[0:1]
	s_delay_alu instid0(VALU_DEP_1) | instskip(NEXT) | instid1(VALU_DEP_1)
	v_lshrrev_b64 v[15:16], 9, v[13:14]
	v_lshlrev_b64 v[13:14], 2, v[15:16]
	s_delay_alu instid0(VALU_DEP_1) | instskip(NEXT) | instid1(VALU_DEP_2)
	v_add_co_u32 v13, vcc_lo, s2, v13
	v_add_co_ci_u32_e32 v14, vcc_lo, s3, v14, vcc_lo
	global_load_b32 v0, v[13:14], off
	v_add_co_u32 v13, vcc_lo, v15, 1
	v_add_co_ci_u32_e32 v14, vcc_lo, 0, v16, vcc_lo
	s_waitcnt vmcnt(0)
	v_cmp_lt_i32_e32 vcc_lo, v0, v19
	s_delay_alu instid0(VALU_DEP_2) | instskip(SKIP_2) | instid1(SALU_CYCLE_1)
	v_dual_cndmask_b32 v13, 0, v13 :: v_dual_cndmask_b32 v14, 0, v14
	v_dual_cndmask_b32 v15, v15, v11 :: v_dual_cndmask_b32 v16, v16, v12
	s_or_b32 exec_lo, exec_lo, s0
	s_mov_b32 s0, exec_lo
	s_delay_alu instid0(VALU_DEP_1)
	v_cmpx_lt_i64_e64 v[13:14], v[15:16]
	s_cbranch_execz .LBB26_58
.LBB26_62:
	v_mad_u64_u32 v[17:18], null, 0x7f, v15, v[13:14]
	s_delay_alu instid0(VALU_DEP_1) | instskip(NEXT) | instid1(VALU_DEP_1)
	v_mov_b32_e32 v0, v18
	v_mad_u64_u32 v[20:21], null, 0x7f, v16, v[0:1]
	s_delay_alu instid0(VALU_DEP_1) | instskip(NEXT) | instid1(VALU_DEP_1)
	v_mov_b32_e32 v18, v20
	v_lshrrev_b64 v[17:18], 7, v[17:18]
	s_delay_alu instid0(VALU_DEP_1) | instskip(NEXT) | instid1(VALU_DEP_1)
	v_lshlrev_b64 v[20:21], 2, v[17:18]
	v_add_co_u32 v20, vcc_lo, s2, v20
	s_delay_alu instid0(VALU_DEP_2)
	v_add_co_ci_u32_e32 v21, vcc_lo, s3, v21, vcc_lo
	global_load_b32 v0, v[20:21], off
	v_add_co_u32 v20, vcc_lo, v17, 1
	v_add_co_ci_u32_e32 v21, vcc_lo, 0, v18, vcc_lo
	s_waitcnt vmcnt(0)
	v_cmp_lt_i32_e32 vcc_lo, v0, v19
	s_delay_alu instid0(VALU_DEP_2) | instskip(SKIP_3) | instid1(SALU_CYCLE_1)
	v_dual_cndmask_b32 v15, v17, v15 :: v_dual_cndmask_b32 v14, v14, v21
	v_cndmask_b32_e32 v13, v13, v20, vcc_lo
	v_cndmask_b32_e32 v16, v18, v16, vcc_lo
	s_or_b32 exec_lo, exec_lo, s0
	s_mov_b32 s0, exec_lo
	s_delay_alu instid0(VALU_DEP_1)
	v_cmpx_lt_i64_e64 v[13:14], v[15:16]
	s_cbranch_execz .LBB26_59
.LBB26_63:
	v_mad_u64_u32 v[17:18], null, v15, 31, v[13:14]
	s_delay_alu instid0(VALU_DEP_1) | instskip(NEXT) | instid1(VALU_DEP_1)
	v_mov_b32_e32 v0, v18
	v_mad_u64_u32 v[20:21], null, v16, 31, v[0:1]
	s_delay_alu instid0(VALU_DEP_1) | instskip(NEXT) | instid1(VALU_DEP_1)
	v_mov_b32_e32 v18, v20
	v_lshrrev_b64 v[17:18], 5, v[17:18]
	s_delay_alu instid0(VALU_DEP_1) | instskip(NEXT) | instid1(VALU_DEP_1)
	v_lshlrev_b64 v[20:21], 2, v[17:18]
	v_add_co_u32 v20, vcc_lo, s2, v20
	s_delay_alu instid0(VALU_DEP_2)
	v_add_co_ci_u32_e32 v21, vcc_lo, s3, v21, vcc_lo
	global_load_b32 v0, v[20:21], off
	v_add_co_u32 v20, vcc_lo, v17, 1
	v_add_co_ci_u32_e32 v21, vcc_lo, 0, v18, vcc_lo
	s_waitcnt vmcnt(0)
	v_cmp_lt_i32_e32 vcc_lo, v0, v19
	s_delay_alu instid0(VALU_DEP_2) | instskip(SKIP_3) | instid1(SALU_CYCLE_1)
	v_dual_cndmask_b32 v15, v17, v15 :: v_dual_cndmask_b32 v14, v14, v21
	v_cndmask_b32_e32 v13, v13, v20, vcc_lo
	v_cndmask_b32_e32 v16, v18, v16, vcc_lo
	s_or_b32 exec_lo, exec_lo, s0
	s_mov_b32 s0, exec_lo
	s_delay_alu instid0(VALU_DEP_1)
	v_cmpx_lt_i64_e64 v[13:14], v[15:16]
	s_cbranch_execz .LBB26_60
.LBB26_64:
	v_mad_u64_u32 v[17:18], null, v15, 15, v[13:14]
	s_delay_alu instid0(VALU_DEP_1) | instskip(NEXT) | instid1(VALU_DEP_1)
	v_mov_b32_e32 v0, v18
	v_mad_u64_u32 v[20:21], null, v16, 15, v[0:1]
	s_delay_alu instid0(VALU_DEP_1) | instskip(NEXT) | instid1(VALU_DEP_1)
	v_mov_b32_e32 v18, v20
	v_lshrrev_b64 v[17:18], 4, v[17:18]
	s_delay_alu instid0(VALU_DEP_1) | instskip(NEXT) | instid1(VALU_DEP_1)
	v_lshlrev_b64 v[20:21], 2, v[17:18]
	v_add_co_u32 v20, vcc_lo, s2, v20
	s_delay_alu instid0(VALU_DEP_2)
	v_add_co_ci_u32_e32 v21, vcc_lo, s3, v21, vcc_lo
	global_load_b32 v0, v[20:21], off
	v_add_co_u32 v20, vcc_lo, v17, 1
	v_add_co_ci_u32_e32 v21, vcc_lo, 0, v18, vcc_lo
	s_waitcnt vmcnt(0)
	v_cmp_lt_i32_e32 vcc_lo, v0, v19
	s_delay_alu instid0(VALU_DEP_2) | instskip(SKIP_3) | instid1(SALU_CYCLE_1)
	v_dual_cndmask_b32 v15, v17, v15 :: v_dual_cndmask_b32 v14, v14, v21
	v_cndmask_b32_e32 v13, v13, v20, vcc_lo
	v_cndmask_b32_e32 v16, v18, v16, vcc_lo
	s_or_b32 exec_lo, exec_lo, s0
	s_mov_b32 s0, exec_lo
	s_delay_alu instid0(VALU_DEP_1)
	v_cmpx_lt_i64_e64 v[13:14], v[15:16]
	s_cbranch_execz .LBB26_68
.LBB26_65:
	s_mov_b32 s4, 0
	.p2align	6
.LBB26_66:                              ; =>This Inner Loop Header: Depth=1
	v_add_co_u32 v17, vcc_lo, v13, v15
	v_add_co_ci_u32_e32 v18, vcc_lo, v14, v16, vcc_lo
	s_delay_alu instid0(VALU_DEP_1) | instskip(NEXT) | instid1(VALU_DEP_1)
	v_ashrrev_i64 v[17:18], 1, v[17:18]
	v_lshlrev_b64 v[20:21], 2, v[17:18]
	s_delay_alu instid0(VALU_DEP_1) | instskip(NEXT) | instid1(VALU_DEP_2)
	v_add_co_u32 v20, vcc_lo, s2, v20
	v_add_co_ci_u32_e32 v21, vcc_lo, s3, v21, vcc_lo
	global_load_b32 v0, v[20:21], off
	v_add_co_u32 v20, vcc_lo, v17, 1
	v_add_co_ci_u32_e32 v21, vcc_lo, 0, v18, vcc_lo
	s_waitcnt vmcnt(0)
	v_cmp_lt_i32_e32 vcc_lo, v0, v19
	s_delay_alu instid0(VALU_DEP_2) | instskip(SKIP_1) | instid1(VALU_DEP_1)
	v_dual_cndmask_b32 v14, v14, v21 :: v_dual_cndmask_b32 v13, v13, v20
	v_dual_cndmask_b32 v16, v18, v16 :: v_dual_cndmask_b32 v15, v17, v15
	v_cmp_ge_i64_e32 vcc_lo, v[13:14], v[15:16]
	s_or_b32 s4, vcc_lo, s4
	s_delay_alu instid0(SALU_CYCLE_1)
	s_and_not1_b32 exec_lo, exec_lo, s4
	s_cbranch_execnz .LBB26_66
; %bb.67:
	s_or_b32 exec_lo, exec_lo, s4
.LBB26_68:
	s_delay_alu instid0(SALU_CYCLE_1)
	s_or_b32 exec_lo, exec_lo, s0
	v_sub_co_u32 v0, vcc_lo, v1, v7
	v_sub_co_ci_u32_e32 v1, vcc_lo, v2, v8, vcc_lo
	v_sub_co_u32 v17, vcc_lo, v11, v13
	v_sub_co_ci_u32_e32 v18, vcc_lo, v12, v14, vcc_lo
	s_mov_b32 s0, exec_lo
	s_delay_alu instid0(VALU_DEP_2) | instskip(NEXT) | instid1(VALU_DEP_2)
	v_add_co_u32 v15, vcc_lo, v17, v0
	v_add_co_ci_u32_e32 v16, vcc_lo, v18, v1, vcc_lo
	s_delay_alu instid0(VALU_DEP_1) | instskip(NEXT) | instid1(VALU_DEP_1)
	v_ashrrev_i64 v[0:1], 1, v[15:16]
	v_cmp_gt_i64_e32 vcc_lo, v[0:1], v[17:18]
	v_dual_cndmask_b32 v1, v18, v1 :: v_dual_cndmask_b32 v0, v17, v0
	s_delay_alu instid0(VALU_DEP_1) | instskip(NEXT) | instid1(VALU_DEP_2)
	v_add_co_u32 v2, vcc_lo, v13, v0
	v_add_co_ci_u32_e32 v14, vcc_lo, v14, v1, vcc_lo
	s_delay_alu instid0(VALU_DEP_2) | instskip(NEXT) | instid1(VALU_DEP_2)
	v_add_co_u32 v13, vcc_lo, v2, 1
	v_add_co_ci_u32_e32 v14, vcc_lo, 0, v14, vcc_lo
	s_delay_alu instid0(VALU_DEP_1) | instskip(SKIP_2) | instid1(VALU_DEP_2)
	v_cmp_gt_i64_e32 vcc_lo, s[6:7], v[13:14]
	v_cndmask_b32_e32 v13, s6, v13, vcc_lo
	v_cndmask_b32_e32 v2, s7, v14, vcc_lo
	v_sub_co_u32 v13, vcc_lo, v13, v11
	s_delay_alu instid0(VALU_DEP_2) | instskip(SKIP_2) | instid1(VALU_DEP_3)
	v_sub_co_ci_u32_e32 v14, vcc_lo, v2, v12, vcc_lo
	v_mov_b32_e32 v11, 0
	v_mov_b32_e32 v12, 0
	v_cmpx_lt_i64_e32 0, v[13:14]
	s_cbranch_execz .LBB26_72
; %bb.69:
	v_mov_b32_e32 v11, 0
	v_mov_b32_e32 v12, 0
	s_mov_b32 s2, 0
	.p2align	6
.LBB26_70:                              ; =>This Inner Loop Header: Depth=1
	s_delay_alu instid0(VALU_DEP_2) | instskip(NEXT) | instid1(VALU_DEP_2)
	v_add_co_u32 v20, vcc_lo, v11, v13
	v_add_co_ci_u32_e32 v21, vcc_lo, v12, v14, vcc_lo
	s_delay_alu instid0(VALU_DEP_1) | instskip(NEXT) | instid1(VALU_DEP_1)
	v_ashrrev_i64 v[20:21], 1, v[20:21]
	v_lshlrev_b64 v[22:23], 2, v[20:21]
	s_delay_alu instid0(VALU_DEP_1) | instskip(NEXT) | instid1(VALU_DEP_2)
	v_add_co_u32 v22, vcc_lo, v9, v22
	v_add_co_ci_u32_e32 v23, vcc_lo, v10, v23, vcc_lo
	global_load_b32 v2, v[22:23], off
	v_add_co_u32 v22, vcc_lo, v20, 1
	v_add_co_ci_u32_e32 v23, vcc_lo, 0, v21, vcc_lo
	s_waitcnt vmcnt(0)
	v_cmp_gt_i32_e32 vcc_lo, v2, v19
	s_delay_alu instid0(VALU_DEP_2) | instskip(SKIP_1) | instid1(VALU_DEP_1)
	v_dual_cndmask_b32 v12, v23, v12 :: v_dual_cndmask_b32 v11, v22, v11
	v_dual_cndmask_b32 v14, v14, v21 :: v_dual_cndmask_b32 v13, v13, v20
	v_cmp_ge_i64_e32 vcc_lo, v[11:12], v[13:14]
	s_or_b32 s2, vcc_lo, s2
	s_delay_alu instid0(SALU_CYCLE_1)
	s_and_not1_b32 exec_lo, exec_lo, s2
	s_cbranch_execnz .LBB26_70
; %bb.71:
	s_or_b32 exec_lo, exec_lo, s2
	v_ashrrev_i32_e32 v12, 31, v11
.LBB26_72:
	s_or_b32 exec_lo, exec_lo, s0
	v_add_co_u32 v9, vcc_lo, v11, v17
	s_delay_alu instid0(VALU_DEP_2) | instskip(SKIP_1) | instid1(VALU_DEP_1)
	v_add_co_ci_u32_e32 v10, vcc_lo, v12, v18, vcc_lo
	s_mov_b32 s2, 0
	v_cmp_lt_i64_e32 vcc_lo, v[9:10], v[0:1]
	v_dual_cndmask_b32 v2, v1, v10 :: v_dual_cndmask_b32 v13, v0, v9
	s_delay_alu instid0(VALU_DEP_1) | instskip(NEXT) | instid1(VALU_DEP_2)
	v_sub_co_u32 v11, vcc_lo, v15, v13
	v_sub_co_ci_u32_e32 v12, vcc_lo, v16, v2, vcc_lo
	v_add_co_u32 v13, vcc_lo, v13, 1
	v_add_co_ci_u32_e32 v14, vcc_lo, 0, v2, vcc_lo
	v_cmp_lt_i64_e32 vcc_lo, v[0:1], v[9:10]
	v_mov_b32_e32 v10, s2
	s_delay_alu instid0(VALU_DEP_3) | instskip(NEXT) | instid1(VALU_DEP_1)
	v_cmp_eq_u64_e64 s0, v[11:12], v[13:14]
	s_and_b32 s0, s0, vcc_lo
	v_add_co_u32 v1, vcc_lo, v11, v7
	v_cndmask_b32_e64 v9, 0, 1, s0
	v_add_co_ci_u32_e32 v2, vcc_lo, v12, v8, vcc_lo
.LBB26_73:
	s_or_b32 exec_lo, exec_lo, s1
	s_delay_alu instid0(VALU_DEP_2) | instskip(SKIP_2) | instid1(VALU_DEP_2)
	v_add_co_u32 v0, vcc_lo, v9, v3
	v_add_co_ci_u32_e32 v4, vcc_lo, v10, v4, vcc_lo
	s_mov_b32 s0, -1
	v_sub_co_u32 v3, vcc_lo, v0, v1
	s_delay_alu instid0(VALU_DEP_2)
	v_sub_co_ci_u32_e32 v4, vcc_lo, v4, v2, vcc_lo
.LBB26_74:
	s_and_saveexec_b32 s1, s0
	s_cbranch_execnz .LBB26_76
; %bb.75:
	s_endpgm
.LBB26_76:
	v_lshlrev_b64 v[5:6], 4, v[5:6]
	s_delay_alu instid0(VALU_DEP_1) | instskip(NEXT) | instid1(VALU_DEP_2)
	v_add_co_u32 v5, vcc_lo, s8, v5
	v_add_co_ci_u32_e32 v6, vcc_lo, s9, v6, vcc_lo
	global_store_b128 v[5:6], v[1:4], off
	s_nop 0
	s_sendmsg sendmsg(MSG_DEALLOC_VGPRS)
	s_endpgm
	.section	.rodata,"a",@progbits
	.p2align	6, 0x0
	.amdhsa_kernel _ZN6thrust23THRUST_200600_302600_NS11hip_rocprim14__parallel_for6kernelILj256EZNS1_16__set_operations9doit_stepILb0ENS0_6detail15normal_iteratorINS0_10device_ptrIKiEEEESB_PiSC_lNS7_INS8_IiEEEESC_NS0_4lessIiEENS4_31serial_set_symmetric_differenceEEE10hipError_tPvRmT0_T1_T2_T3_T4_SP_T5_T6_PSP_T7_T8_P12ihipStream_tbEUllE_jLj1EEEvSL_SM_SM_
		.amdhsa_group_segment_fixed_size 0
		.amdhsa_private_segment_fixed_size 0
		.amdhsa_kernarg_size 56
		.amdhsa_user_sgpr_count 15
		.amdhsa_user_sgpr_dispatch_ptr 0
		.amdhsa_user_sgpr_queue_ptr 0
		.amdhsa_user_sgpr_kernarg_segment_ptr 1
		.amdhsa_user_sgpr_dispatch_id 0
		.amdhsa_user_sgpr_private_segment_size 0
		.amdhsa_wavefront_size32 1
		.amdhsa_uses_dynamic_stack 0
		.amdhsa_enable_private_segment 0
		.amdhsa_system_sgpr_workgroup_id_x 1
		.amdhsa_system_sgpr_workgroup_id_y 0
		.amdhsa_system_sgpr_workgroup_id_z 0
		.amdhsa_system_sgpr_workgroup_info 0
		.amdhsa_system_vgpr_workitem_id 0
		.amdhsa_next_free_vgpr 25
		.amdhsa_next_free_sgpr 16
		.amdhsa_reserve_vcc 1
		.amdhsa_float_round_mode_32 0
		.amdhsa_float_round_mode_16_64 0
		.amdhsa_float_denorm_mode_32 3
		.amdhsa_float_denorm_mode_16_64 3
		.amdhsa_dx10_clamp 1
		.amdhsa_ieee_mode 1
		.amdhsa_fp16_overflow 0
		.amdhsa_workgroup_processor_mode 1
		.amdhsa_memory_ordered 1
		.amdhsa_forward_progress 0
		.amdhsa_shared_vgpr_count 0
		.amdhsa_exception_fp_ieee_invalid_op 0
		.amdhsa_exception_fp_denorm_src 0
		.amdhsa_exception_fp_ieee_div_zero 0
		.amdhsa_exception_fp_ieee_overflow 0
		.amdhsa_exception_fp_ieee_underflow 0
		.amdhsa_exception_fp_ieee_inexact 0
		.amdhsa_exception_int_div_zero 0
	.end_amdhsa_kernel
	.section	.text._ZN6thrust23THRUST_200600_302600_NS11hip_rocprim14__parallel_for6kernelILj256EZNS1_16__set_operations9doit_stepILb0ENS0_6detail15normal_iteratorINS0_10device_ptrIKiEEEESB_PiSC_lNS7_INS8_IiEEEESC_NS0_4lessIiEENS4_31serial_set_symmetric_differenceEEE10hipError_tPvRmT0_T1_T2_T3_T4_SP_T5_T6_PSP_T7_T8_P12ihipStream_tbEUllE_jLj1EEEvSL_SM_SM_,"axG",@progbits,_ZN6thrust23THRUST_200600_302600_NS11hip_rocprim14__parallel_for6kernelILj256EZNS1_16__set_operations9doit_stepILb0ENS0_6detail15normal_iteratorINS0_10device_ptrIKiEEEESB_PiSC_lNS7_INS8_IiEEEESC_NS0_4lessIiEENS4_31serial_set_symmetric_differenceEEE10hipError_tPvRmT0_T1_T2_T3_T4_SP_T5_T6_PSP_T7_T8_P12ihipStream_tbEUllE_jLj1EEEvSL_SM_SM_,comdat
.Lfunc_end26:
	.size	_ZN6thrust23THRUST_200600_302600_NS11hip_rocprim14__parallel_for6kernelILj256EZNS1_16__set_operations9doit_stepILb0ENS0_6detail15normal_iteratorINS0_10device_ptrIKiEEEESB_PiSC_lNS7_INS8_IiEEEESC_NS0_4lessIiEENS4_31serial_set_symmetric_differenceEEE10hipError_tPvRmT0_T1_T2_T3_T4_SP_T5_T6_PSP_T7_T8_P12ihipStream_tbEUllE_jLj1EEEvSL_SM_SM_, .Lfunc_end26-_ZN6thrust23THRUST_200600_302600_NS11hip_rocprim14__parallel_for6kernelILj256EZNS1_16__set_operations9doit_stepILb0ENS0_6detail15normal_iteratorINS0_10device_ptrIKiEEEESB_PiSC_lNS7_INS8_IiEEEESC_NS0_4lessIiEENS4_31serial_set_symmetric_differenceEEE10hipError_tPvRmT0_T1_T2_T3_T4_SP_T5_T6_PSP_T7_T8_P12ihipStream_tbEUllE_jLj1EEEvSL_SM_SM_
                                        ; -- End function
	.section	.AMDGPU.csdata,"",@progbits
; Kernel info:
; codeLenInByte = 5124
; NumSgprs: 18
; NumVgprs: 25
; ScratchSize: 0
; MemoryBound: 0
; FloatMode: 240
; IeeeMode: 1
; LDSByteSize: 0 bytes/workgroup (compile time only)
; SGPRBlocks: 2
; VGPRBlocks: 3
; NumSGPRsForWavesPerEU: 18
; NumVGPRsForWavesPerEU: 25
; Occupancy: 16
; WaveLimiterHint : 0
; COMPUTE_PGM_RSRC2:SCRATCH_EN: 0
; COMPUTE_PGM_RSRC2:USER_SGPR: 15
; COMPUTE_PGM_RSRC2:TRAP_HANDLER: 0
; COMPUTE_PGM_RSRC2:TGID_X_EN: 1
; COMPUTE_PGM_RSRC2:TGID_Y_EN: 0
; COMPUTE_PGM_RSRC2:TGID_Z_EN: 0
; COMPUTE_PGM_RSRC2:TIDIG_COMP_CNT: 0
	.section	.text._ZN6thrust23THRUST_200600_302600_NS11hip_rocprim16__set_operations22lookback_set_op_kernelIN7rocprim17ROCPRIM_400000_NS13kernel_configILj256ELj16ELj4294967295EEELb0ENS0_6detail15normal_iteratorINS0_10device_ptrIKiEEEESD_PiSE_lNS9_INSA_IiEEEESE_NS0_4lessIiEENS2_31serial_set_symmetric_differenceENS5_6detail19lookback_scan_stateIlLb0ELb1EEEEEvT1_T2_T3_T4_T6_T7_T8_T9_PNS0_4pairIT5_SW_EEPSW_T10_NSK_16ordered_block_idIjEE,"axG",@progbits,_ZN6thrust23THRUST_200600_302600_NS11hip_rocprim16__set_operations22lookback_set_op_kernelIN7rocprim17ROCPRIM_400000_NS13kernel_configILj256ELj16ELj4294967295EEELb0ENS0_6detail15normal_iteratorINS0_10device_ptrIKiEEEESD_PiSE_lNS9_INSA_IiEEEESE_NS0_4lessIiEENS2_31serial_set_symmetric_differenceENS5_6detail19lookback_scan_stateIlLb0ELb1EEEEEvT1_T2_T3_T4_T6_T7_T8_T9_PNS0_4pairIT5_SW_EEPSW_T10_NSK_16ordered_block_idIjEE,comdat
	.protected	_ZN6thrust23THRUST_200600_302600_NS11hip_rocprim16__set_operations22lookback_set_op_kernelIN7rocprim17ROCPRIM_400000_NS13kernel_configILj256ELj16ELj4294967295EEELb0ENS0_6detail15normal_iteratorINS0_10device_ptrIKiEEEESD_PiSE_lNS9_INSA_IiEEEESE_NS0_4lessIiEENS2_31serial_set_symmetric_differenceENS5_6detail19lookback_scan_stateIlLb0ELb1EEEEEvT1_T2_T3_T4_T6_T7_T8_T9_PNS0_4pairIT5_SW_EEPSW_T10_NSK_16ordered_block_idIjEE ; -- Begin function _ZN6thrust23THRUST_200600_302600_NS11hip_rocprim16__set_operations22lookback_set_op_kernelIN7rocprim17ROCPRIM_400000_NS13kernel_configILj256ELj16ELj4294967295EEELb0ENS0_6detail15normal_iteratorINS0_10device_ptrIKiEEEESD_PiSE_lNS9_INSA_IiEEEESE_NS0_4lessIiEENS2_31serial_set_symmetric_differenceENS5_6detail19lookback_scan_stateIlLb0ELb1EEEEEvT1_T2_T3_T4_T6_T7_T8_T9_PNS0_4pairIT5_SW_EEPSW_T10_NSK_16ordered_block_idIjEE
	.globl	_ZN6thrust23THRUST_200600_302600_NS11hip_rocprim16__set_operations22lookback_set_op_kernelIN7rocprim17ROCPRIM_400000_NS13kernel_configILj256ELj16ELj4294967295EEELb0ENS0_6detail15normal_iteratorINS0_10device_ptrIKiEEEESD_PiSE_lNS9_INSA_IiEEEESE_NS0_4lessIiEENS2_31serial_set_symmetric_differenceENS5_6detail19lookback_scan_stateIlLb0ELb1EEEEEvT1_T2_T3_T4_T6_T7_T8_T9_PNS0_4pairIT5_SW_EEPSW_T10_NSK_16ordered_block_idIjEE
	.p2align	8
	.type	_ZN6thrust23THRUST_200600_302600_NS11hip_rocprim16__set_operations22lookback_set_op_kernelIN7rocprim17ROCPRIM_400000_NS13kernel_configILj256ELj16ELj4294967295EEELb0ENS0_6detail15normal_iteratorINS0_10device_ptrIKiEEEESD_PiSE_lNS9_INSA_IiEEEESE_NS0_4lessIiEENS2_31serial_set_symmetric_differenceENS5_6detail19lookback_scan_stateIlLb0ELb1EEEEEvT1_T2_T3_T4_T6_T7_T8_T9_PNS0_4pairIT5_SW_EEPSW_T10_NSK_16ordered_block_idIjEE,@function
_ZN6thrust23THRUST_200600_302600_NS11hip_rocprim16__set_operations22lookback_set_op_kernelIN7rocprim17ROCPRIM_400000_NS13kernel_configILj256ELj16ELj4294967295EEELb0ENS0_6detail15normal_iteratorINS0_10device_ptrIKiEEEESD_PiSE_lNS9_INSA_IiEEEESE_NS0_4lessIiEENS2_31serial_set_symmetric_differenceENS5_6detail19lookback_scan_stateIlLb0ELb1EEEEEvT1_T2_T3_T4_T6_T7_T8_T9_PNS0_4pairIT5_SW_EEPSW_T10_NSK_16ordered_block_idIjEE: ; @_ZN6thrust23THRUST_200600_302600_NS11hip_rocprim16__set_operations22lookback_set_op_kernelIN7rocprim17ROCPRIM_400000_NS13kernel_configILj256ELj16ELj4294967295EEELb0ENS0_6detail15normal_iteratorINS0_10device_ptrIKiEEEESD_PiSE_lNS9_INSA_IiEEEESE_NS0_4lessIiEENS2_31serial_set_symmetric_differenceENS5_6detail19lookback_scan_stateIlLb0ELb1EEEEEvT1_T2_T3_T4_T6_T7_T8_T9_PNS0_4pairIT5_SW_EEPSW_T10_NSK_16ordered_block_idIjEE
; %bb.0:
	s_clause 0x2
	s_load_b32 s3, s[0:1], 0x64
	s_load_b32 s2, s[0:1], 0x58
	s_load_b256 s[36:43], s[0:1], 0x38
	v_bfe_u32 v1, v0, 10, 10
	v_bfe_u32 v2, v0, 20, 10
	v_and_b32_e32 v16, 0x3ff, v0
	s_waitcnt lgkmcnt(0)
	s_lshr_b32 s4, s3, 16
	s_and_b32 s3, s3, 0xffff
	v_mad_u32_u24 v1, v2, s4, v1
	s_delay_alu instid0(VALU_DEP_1) | instskip(SKIP_2) | instid1(VALU_DEP_1)
	v_mul_lo_u32 v0, v1, s3
	v_sub_nc_u32_e32 v1, 0, v16
	s_mov_b32 s3, exec_lo
	v_cmpx_eq_u32_e64 v0, v1
	s_cbranch_execz .LBB27_4
; %bb.1:
	s_mov_b32 s5, exec_lo
	s_mov_b32 s4, exec_lo
	v_mbcnt_lo_u32_b32 v0, s5, 0
                                        ; implicit-def: $vgpr1
	s_delay_alu instid0(VALU_DEP_1)
	v_cmpx_eq_u32_e32 0, v0
	s_cbranch_execz .LBB27_3
; %bb.2:
	s_bcnt1_i32_b32 s5, s5
	s_delay_alu instid0(SALU_CYCLE_1)
	v_dual_mov_b32 v1, 0 :: v_dual_mov_b32 v2, s5
	global_atomic_add_u32 v1, v1, v2, s[42:43] glc
.LBB27_3:
	s_or_b32 exec_lo, exec_lo, s4
	s_waitcnt vmcnt(0)
	v_readfirstlane_b32 s4, v1
	s_delay_alu instid0(VALU_DEP_1)
	v_dual_mov_b32 v1, 0 :: v_dual_add_nc_u32 v0, s4, v0
	ds_store_b32 v1, v0 offset:36864
.LBB27_4:
	s_or_b32 exec_lo, exec_lo, s3
	v_mov_b32_e32 v4, 0
	s_waitcnt lgkmcnt(0)
	s_barrier
	buffer_gl0_inv
	s_add_i32 s8, s2, -1
	ds_load_b32 v8, v4 offset:36864
	s_load_b64 s[42:43], s[0:1], 0x20
	s_waitcnt lgkmcnt(0)
	v_readfirstlane_b32 s44, v8
	v_cmp_le_i32_e32 vcc_lo, s8, v8
	s_delay_alu instid0(VALU_DEP_2) | instskip(NEXT) | instid1(SALU_CYCLE_1)
	s_ashr_i32 s45, s44, 31
	s_lshl_b64 s[4:5], s[44:45], 4
	s_delay_alu instid0(SALU_CYCLE_1)
	s_add_u32 s2, s36, s4
	s_addc_u32 s3, s37, s5
	s_load_b128 s[4:7], s[0:1], 0x0
	s_clause 0x1
	global_load_b128 v[0:3], v4, s[2:3]
	global_load_b128 v[4:7], v4, s[2:3] offset:16
	s_and_b32 vcc_lo, exec_lo, vcc_lo
	s_waitcnt vmcnt(1)
	v_readfirstlane_b32 s2, v0
	s_waitcnt vmcnt(0)
	v_sub_nc_u32_e32 v17, v6, v2
	v_lshlrev_b64 v[2:3], 2, v[2:3]
	v_readfirstlane_b32 s1, v4
	v_mov_b32_e32 v0, s2
	s_delay_alu instid0(VALU_DEP_2) | instskip(NEXT) | instid1(VALU_DEP_1)
	s_sub_i32 s37, s1, s2
	v_lshlrev_b64 v[0:1], 2, v[0:1]
	s_waitcnt lgkmcnt(0)
	s_delay_alu instid0(VALU_DEP_1) | instskip(NEXT) | instid1(VALU_DEP_1)
	v_add_co_u32 v20, s0, s4, v0
	v_add_co_ci_u32_e64 v21, s0, s5, v1, s0
	v_add_co_u32 v18, s0, s6, v2
	s_delay_alu instid0(VALU_DEP_1)
	v_add_co_ci_u32_e64 v19, s0, s7, v3, s0
	s_mov_b32 s0, -1
	s_cbranch_vccz .LBB27_250
; %bb.5:
	v_add_nc_u32_e32 v23, s37, v17
	s_mov_b32 s0, exec_lo
                                        ; implicit-def: $vgpr0_vgpr1_vgpr2_vgpr3_vgpr4_vgpr5_vgpr6_vgpr7_vgpr8_vgpr9_vgpr10_vgpr11_vgpr12_vgpr13_vgpr14_vgpr15
	s_delay_alu instid0(VALU_DEP_1)
	v_cmpx_lt_i32_e64 v16, v23
	s_cbranch_execz .LBB27_7
; %bb.6:
	v_subrev_nc_u32_e32 v0, s37, v16
	v_lshlrev_b32_e32 v2, 2, v16
	s_delay_alu instid0(VALU_DEP_2) | instskip(NEXT) | instid1(VALU_DEP_2)
	v_ashrrev_i32_e32 v1, 31, v0
	v_add_co_u32 v2, vcc_lo, v20, v2
	v_add_co_ci_u32_e32 v3, vcc_lo, 0, v21, vcc_lo
	s_delay_alu instid0(VALU_DEP_3) | instskip(NEXT) | instid1(VALU_DEP_1)
	v_lshlrev_b64 v[0:1], 2, v[0:1]
	v_add_co_u32 v0, vcc_lo, v18, v0
	s_delay_alu instid0(VALU_DEP_2) | instskip(SKIP_1) | instid1(VALU_DEP_2)
	v_add_co_ci_u32_e32 v1, vcc_lo, v19, v1, vcc_lo
	v_cmp_gt_i32_e32 vcc_lo, s37, v16
	v_dual_cndmask_b32 v1, v1, v3 :: v_dual_cndmask_b32 v0, v0, v2
	global_load_b32 v0, v[0:1], off
.LBB27_7:
	s_or_b32 exec_lo, exec_lo, s0
	v_add_nc_u32_e32 v22, 0x100, v16
	s_mov_b32 s0, exec_lo
	s_delay_alu instid0(VALU_DEP_1)
	v_cmpx_lt_i32_e64 v22, v23
	s_cbranch_execz .LBB27_9
; %bb.8:
	s_ashr_i32 s1, s37, 31
	v_sub_co_u32 v24, s2, v16, s37
	s_delay_alu instid0(VALU_DEP_1) | instskip(SKIP_1) | instid1(VALU_DEP_2)
	v_sub_co_ci_u32_e64 v25, null, 0, s1, s2
	v_lshlrev_b32_e32 v1, 2, v16
	v_lshlrev_b64 v[24:25], 2, v[24:25]
	s_delay_alu instid0(VALU_DEP_2) | instskip(SKIP_1) | instid1(VALU_DEP_3)
	v_add_co_u32 v1, vcc_lo, v20, v1
	v_add_co_ci_u32_e32 v26, vcc_lo, 0, v21, vcc_lo
	v_add_co_u32 v24, vcc_lo, v18, v24
	s_delay_alu instid0(VALU_DEP_4) | instskip(SKIP_1) | instid1(VALU_DEP_2)
	v_add_co_ci_u32_e32 v25, vcc_lo, v19, v25, vcc_lo
	v_cmp_gt_i32_e32 vcc_lo, s37, v22
	v_dual_cndmask_b32 v25, v25, v26 :: v_dual_cndmask_b32 v24, v24, v1
	global_load_b32 v1, v[24:25], off offset:1024
.LBB27_9:
	s_or_b32 exec_lo, exec_lo, s0
	v_add_nc_u32_e32 v22, 0x200, v16
	s_mov_b32 s0, exec_lo
	s_delay_alu instid0(VALU_DEP_1)
	v_cmpx_lt_i32_e64 v22, v23
	s_cbranch_execz .LBB27_11
; %bb.10:
	s_ashr_i32 s1, s37, 31
	v_sub_co_u32 v24, s2, v16, s37
	s_delay_alu instid0(VALU_DEP_1) | instskip(SKIP_1) | instid1(VALU_DEP_2)
	v_sub_co_ci_u32_e64 v25, null, 0, s1, s2
	v_lshlrev_b32_e32 v2, 2, v16
	v_lshlrev_b64 v[24:25], 2, v[24:25]
	s_delay_alu instid0(VALU_DEP_2) | instskip(SKIP_1) | instid1(VALU_DEP_3)
	v_add_co_u32 v2, vcc_lo, v20, v2
	v_add_co_ci_u32_e32 v26, vcc_lo, 0, v21, vcc_lo
	v_add_co_u32 v24, vcc_lo, v18, v24
	s_delay_alu instid0(VALU_DEP_4) | instskip(SKIP_1) | instid1(VALU_DEP_2)
	v_add_co_ci_u32_e32 v25, vcc_lo, v19, v25, vcc_lo
	v_cmp_gt_i32_e32 vcc_lo, s37, v22
	v_cndmask_b32_e32 v25, v25, v26, vcc_lo
	s_delay_alu instid0(VALU_DEP_4)
	v_cndmask_b32_e32 v24, v24, v2, vcc_lo
	global_load_b32 v2, v[24:25], off offset:2048
.LBB27_11:
	s_or_b32 exec_lo, exec_lo, s0
	v_add_nc_u32_e32 v22, 0x300, v16
	s_mov_b32 s0, exec_lo
	s_delay_alu instid0(VALU_DEP_1)
	v_cmpx_lt_i32_e64 v22, v23
	s_cbranch_execz .LBB27_13
; %bb.12:
	s_ashr_i32 s1, s37, 31
	v_sub_co_u32 v24, s2, v16, s37
	s_delay_alu instid0(VALU_DEP_1) | instskip(SKIP_1) | instid1(VALU_DEP_2)
	v_sub_co_ci_u32_e64 v25, null, 0, s1, s2
	v_lshlrev_b32_e32 v3, 2, v16
	v_lshlrev_b64 v[24:25], 2, v[24:25]
	s_delay_alu instid0(VALU_DEP_2) | instskip(SKIP_1) | instid1(VALU_DEP_3)
	v_add_co_u32 v3, vcc_lo, v20, v3
	v_add_co_ci_u32_e32 v26, vcc_lo, 0, v21, vcc_lo
	v_add_co_u32 v24, vcc_lo, v18, v24
	s_delay_alu instid0(VALU_DEP_4) | instskip(SKIP_1) | instid1(VALU_DEP_2)
	v_add_co_ci_u32_e32 v25, vcc_lo, v19, v25, vcc_lo
	v_cmp_gt_i32_e32 vcc_lo, s37, v22
	v_dual_cndmask_b32 v25, v25, v26 :: v_dual_cndmask_b32 v24, v24, v3
	global_load_b32 v3, v[24:25], off offset:3072
.LBB27_13:
	s_or_b32 exec_lo, exec_lo, s0
	v_or_b32_e32 v22, 0x400, v16
	s_mov_b32 s0, exec_lo
	s_delay_alu instid0(VALU_DEP_1)
	v_cmpx_lt_i32_e64 v22, v23
	s_cbranch_execz .LBB27_15
; %bb.14:
	v_subrev_nc_u32_e32 v24, s37, v22
	v_lshlrev_b32_e32 v4, 2, v22
	s_delay_alu instid0(VALU_DEP_2) | instskip(NEXT) | instid1(VALU_DEP_2)
	v_ashrrev_i32_e32 v25, 31, v24
	v_add_co_u32 v4, vcc_lo, v20, v4
	v_add_co_ci_u32_e32 v26, vcc_lo, 0, v21, vcc_lo
	s_delay_alu instid0(VALU_DEP_3) | instskip(NEXT) | instid1(VALU_DEP_1)
	v_lshlrev_b64 v[24:25], 2, v[24:25]
	v_add_co_u32 v24, vcc_lo, v18, v24
	s_delay_alu instid0(VALU_DEP_2) | instskip(SKIP_1) | instid1(VALU_DEP_2)
	v_add_co_ci_u32_e32 v25, vcc_lo, v19, v25, vcc_lo
	v_cmp_gt_i32_e32 vcc_lo, s37, v22
	v_dual_cndmask_b32 v25, v25, v26 :: v_dual_cndmask_b32 v24, v24, v4
	global_load_b32 v4, v[24:25], off
.LBB27_15:
	s_or_b32 exec_lo, exec_lo, s0
	v_add_nc_u32_e32 v22, 0x500, v16
	s_mov_b32 s0, exec_lo
	s_delay_alu instid0(VALU_DEP_1)
	v_cmpx_lt_i32_e64 v22, v23
	s_cbranch_execz .LBB27_17
; %bb.16:
	v_subrev_nc_u32_e32 v24, s37, v22
	v_lshlrev_b32_e32 v5, 2, v22
	s_delay_alu instid0(VALU_DEP_2) | instskip(NEXT) | instid1(VALU_DEP_2)
	v_ashrrev_i32_e32 v25, 31, v24
	v_add_co_u32 v5, vcc_lo, v20, v5
	v_add_co_ci_u32_e32 v26, vcc_lo, 0, v21, vcc_lo
	s_delay_alu instid0(VALU_DEP_3) | instskip(NEXT) | instid1(VALU_DEP_1)
	v_lshlrev_b64 v[24:25], 2, v[24:25]
	v_add_co_u32 v24, vcc_lo, v18, v24
	s_delay_alu instid0(VALU_DEP_2) | instskip(SKIP_1) | instid1(VALU_DEP_2)
	v_add_co_ci_u32_e32 v25, vcc_lo, v19, v25, vcc_lo
	v_cmp_gt_i32_e32 vcc_lo, s37, v22
	v_dual_cndmask_b32 v25, v25, v26 :: v_dual_cndmask_b32 v24, v24, v5
	global_load_b32 v5, v[24:25], off
.LBB27_17:
	s_or_b32 exec_lo, exec_lo, s0
	v_add_nc_u32_e32 v22, 0x600, v16
	s_mov_b32 s0, exec_lo
	s_delay_alu instid0(VALU_DEP_1)
	v_cmpx_lt_i32_e64 v22, v23
	s_cbranch_execz .LBB27_19
; %bb.18:
	v_subrev_nc_u32_e32 v24, s37, v22
	v_lshlrev_b32_e32 v6, 2, v22
	s_delay_alu instid0(VALU_DEP_2) | instskip(NEXT) | instid1(VALU_DEP_2)
	v_ashrrev_i32_e32 v25, 31, v24
	v_add_co_u32 v6, vcc_lo, v20, v6
	v_add_co_ci_u32_e32 v26, vcc_lo, 0, v21, vcc_lo
	s_delay_alu instid0(VALU_DEP_3) | instskip(NEXT) | instid1(VALU_DEP_1)
	v_lshlrev_b64 v[24:25], 2, v[24:25]
	v_add_co_u32 v24, vcc_lo, v18, v24
	s_delay_alu instid0(VALU_DEP_2) | instskip(SKIP_1) | instid1(VALU_DEP_2)
	v_add_co_ci_u32_e32 v25, vcc_lo, v19, v25, vcc_lo
	v_cmp_gt_i32_e32 vcc_lo, s37, v22
	v_cndmask_b32_e32 v25, v25, v26, vcc_lo
	s_delay_alu instid0(VALU_DEP_4)
	v_cndmask_b32_e32 v24, v24, v6, vcc_lo
	global_load_b32 v6, v[24:25], off
.LBB27_19:
	s_or_b32 exec_lo, exec_lo, s0
	v_add_nc_u32_e32 v22, 0x700, v16
	s_mov_b32 s0, exec_lo
	s_delay_alu instid0(VALU_DEP_1)
	v_cmpx_lt_i32_e64 v22, v23
	s_cbranch_execz .LBB27_21
; %bb.20:
	v_subrev_nc_u32_e32 v24, s37, v22
	v_lshlrev_b32_e32 v7, 2, v22
	s_delay_alu instid0(VALU_DEP_2) | instskip(NEXT) | instid1(VALU_DEP_2)
	v_ashrrev_i32_e32 v25, 31, v24
	v_add_co_u32 v7, vcc_lo, v20, v7
	v_add_co_ci_u32_e32 v26, vcc_lo, 0, v21, vcc_lo
	s_delay_alu instid0(VALU_DEP_3) | instskip(NEXT) | instid1(VALU_DEP_1)
	v_lshlrev_b64 v[24:25], 2, v[24:25]
	v_add_co_u32 v24, vcc_lo, v18, v24
	s_delay_alu instid0(VALU_DEP_2) | instskip(SKIP_1) | instid1(VALU_DEP_2)
	v_add_co_ci_u32_e32 v25, vcc_lo, v19, v25, vcc_lo
	v_cmp_gt_i32_e32 vcc_lo, s37, v22
	v_dual_cndmask_b32 v25, v25, v26 :: v_dual_cndmask_b32 v24, v24, v7
	global_load_b32 v7, v[24:25], off
.LBB27_21:
	s_or_b32 exec_lo, exec_lo, s0
	v_or_b32_e32 v22, 0x800, v16
	s_mov_b32 s0, exec_lo
	s_delay_alu instid0(VALU_DEP_1)
	v_cmpx_lt_i32_e64 v22, v23
	s_cbranch_execz .LBB27_23
; %bb.22:
	v_subrev_nc_u32_e32 v24, s37, v22
	v_lshlrev_b32_e32 v8, 2, v22
	s_delay_alu instid0(VALU_DEP_2) | instskip(NEXT) | instid1(VALU_DEP_2)
	v_ashrrev_i32_e32 v25, 31, v24
	v_add_co_u32 v8, vcc_lo, v20, v8
	v_add_co_ci_u32_e32 v26, vcc_lo, 0, v21, vcc_lo
	s_delay_alu instid0(VALU_DEP_3) | instskip(NEXT) | instid1(VALU_DEP_1)
	v_lshlrev_b64 v[24:25], 2, v[24:25]
	v_add_co_u32 v24, vcc_lo, v18, v24
	s_delay_alu instid0(VALU_DEP_2) | instskip(SKIP_1) | instid1(VALU_DEP_2)
	v_add_co_ci_u32_e32 v25, vcc_lo, v19, v25, vcc_lo
	v_cmp_gt_i32_e32 vcc_lo, s37, v22
	v_dual_cndmask_b32 v25, v25, v26 :: v_dual_cndmask_b32 v24, v24, v8
	global_load_b32 v8, v[24:25], off
.LBB27_23:
	s_or_b32 exec_lo, exec_lo, s0
	v_add_nc_u32_e32 v22, 0x900, v16
	s_mov_b32 s0, exec_lo
	s_delay_alu instid0(VALU_DEP_1)
	v_cmpx_lt_i32_e64 v22, v23
	s_cbranch_execz .LBB27_25
; %bb.24:
	v_subrev_nc_u32_e32 v24, s37, v22
	v_lshlrev_b32_e32 v9, 2, v22
	s_delay_alu instid0(VALU_DEP_2) | instskip(NEXT) | instid1(VALU_DEP_2)
	v_ashrrev_i32_e32 v25, 31, v24
	v_add_co_u32 v9, vcc_lo, v20, v9
	v_add_co_ci_u32_e32 v26, vcc_lo, 0, v21, vcc_lo
	s_delay_alu instid0(VALU_DEP_3) | instskip(NEXT) | instid1(VALU_DEP_1)
	v_lshlrev_b64 v[24:25], 2, v[24:25]
	v_add_co_u32 v24, vcc_lo, v18, v24
	s_delay_alu instid0(VALU_DEP_2) | instskip(SKIP_1) | instid1(VALU_DEP_2)
	v_add_co_ci_u32_e32 v25, vcc_lo, v19, v25, vcc_lo
	v_cmp_gt_i32_e32 vcc_lo, s37, v22
	v_dual_cndmask_b32 v25, v25, v26 :: v_dual_cndmask_b32 v24, v24, v9
	global_load_b32 v9, v[24:25], off
.LBB27_25:
	s_or_b32 exec_lo, exec_lo, s0
	v_add_nc_u32_e32 v22, 0xa00, v16
	s_mov_b32 s0, exec_lo
	s_delay_alu instid0(VALU_DEP_1)
	v_cmpx_lt_i32_e64 v22, v23
	s_cbranch_execz .LBB27_27
; %bb.26:
	v_subrev_nc_u32_e32 v24, s37, v22
	v_lshlrev_b32_e32 v10, 2, v22
	s_delay_alu instid0(VALU_DEP_2) | instskip(NEXT) | instid1(VALU_DEP_2)
	v_ashrrev_i32_e32 v25, 31, v24
	v_add_co_u32 v10, vcc_lo, v20, v10
	v_add_co_ci_u32_e32 v26, vcc_lo, 0, v21, vcc_lo
	s_delay_alu instid0(VALU_DEP_3) | instskip(NEXT) | instid1(VALU_DEP_1)
	v_lshlrev_b64 v[24:25], 2, v[24:25]
	v_add_co_u32 v24, vcc_lo, v18, v24
	s_delay_alu instid0(VALU_DEP_2) | instskip(SKIP_1) | instid1(VALU_DEP_2)
	v_add_co_ci_u32_e32 v25, vcc_lo, v19, v25, vcc_lo
	v_cmp_gt_i32_e32 vcc_lo, s37, v22
	v_cndmask_b32_e32 v25, v25, v26, vcc_lo
	s_delay_alu instid0(VALU_DEP_4)
	v_cndmask_b32_e32 v24, v24, v10, vcc_lo
	global_load_b32 v10, v[24:25], off
.LBB27_27:
	s_or_b32 exec_lo, exec_lo, s0
	v_add_nc_u32_e32 v22, 0xb00, v16
	s_mov_b32 s0, exec_lo
	s_delay_alu instid0(VALU_DEP_1)
	v_cmpx_lt_i32_e64 v22, v23
	s_cbranch_execz .LBB27_29
; %bb.28:
	v_subrev_nc_u32_e32 v24, s37, v22
	v_lshlrev_b32_e32 v11, 2, v22
	s_delay_alu instid0(VALU_DEP_2) | instskip(NEXT) | instid1(VALU_DEP_2)
	v_ashrrev_i32_e32 v25, 31, v24
	v_add_co_u32 v11, vcc_lo, v20, v11
	v_add_co_ci_u32_e32 v26, vcc_lo, 0, v21, vcc_lo
	s_delay_alu instid0(VALU_DEP_3) | instskip(NEXT) | instid1(VALU_DEP_1)
	v_lshlrev_b64 v[24:25], 2, v[24:25]
	v_add_co_u32 v24, vcc_lo, v18, v24
	s_delay_alu instid0(VALU_DEP_2) | instskip(SKIP_1) | instid1(VALU_DEP_2)
	v_add_co_ci_u32_e32 v25, vcc_lo, v19, v25, vcc_lo
	v_cmp_gt_i32_e32 vcc_lo, s37, v22
	v_dual_cndmask_b32 v25, v25, v26 :: v_dual_cndmask_b32 v24, v24, v11
	global_load_b32 v11, v[24:25], off
.LBB27_29:
	s_or_b32 exec_lo, exec_lo, s0
	v_or_b32_e32 v22, 0xc00, v16
	s_mov_b32 s0, exec_lo
	s_delay_alu instid0(VALU_DEP_1)
	v_cmpx_lt_i32_e64 v22, v23
	s_cbranch_execz .LBB27_31
; %bb.30:
	v_subrev_nc_u32_e32 v24, s37, v22
	v_lshlrev_b32_e32 v12, 2, v22
	s_delay_alu instid0(VALU_DEP_2) | instskip(NEXT) | instid1(VALU_DEP_2)
	v_ashrrev_i32_e32 v25, 31, v24
	v_add_co_u32 v12, vcc_lo, v20, v12
	v_add_co_ci_u32_e32 v26, vcc_lo, 0, v21, vcc_lo
	s_delay_alu instid0(VALU_DEP_3) | instskip(NEXT) | instid1(VALU_DEP_1)
	v_lshlrev_b64 v[24:25], 2, v[24:25]
	v_add_co_u32 v24, vcc_lo, v18, v24
	s_delay_alu instid0(VALU_DEP_2) | instskip(SKIP_1) | instid1(VALU_DEP_2)
	v_add_co_ci_u32_e32 v25, vcc_lo, v19, v25, vcc_lo
	v_cmp_gt_i32_e32 vcc_lo, s37, v22
	v_dual_cndmask_b32 v25, v25, v26 :: v_dual_cndmask_b32 v24, v24, v12
	global_load_b32 v12, v[24:25], off
.LBB27_31:
	s_or_b32 exec_lo, exec_lo, s0
	v_add_nc_u32_e32 v22, 0xd00, v16
	s_mov_b32 s0, exec_lo
	s_delay_alu instid0(VALU_DEP_1)
	v_cmpx_lt_i32_e64 v22, v23
	s_cbranch_execz .LBB27_33
; %bb.32:
	v_subrev_nc_u32_e32 v24, s37, v22
	v_lshlrev_b32_e32 v13, 2, v22
	s_delay_alu instid0(VALU_DEP_2) | instskip(NEXT) | instid1(VALU_DEP_2)
	v_ashrrev_i32_e32 v25, 31, v24
	v_add_co_u32 v13, vcc_lo, v20, v13
	v_add_co_ci_u32_e32 v26, vcc_lo, 0, v21, vcc_lo
	s_delay_alu instid0(VALU_DEP_3) | instskip(NEXT) | instid1(VALU_DEP_1)
	v_lshlrev_b64 v[24:25], 2, v[24:25]
	v_add_co_u32 v24, vcc_lo, v18, v24
	s_delay_alu instid0(VALU_DEP_2) | instskip(SKIP_1) | instid1(VALU_DEP_2)
	v_add_co_ci_u32_e32 v25, vcc_lo, v19, v25, vcc_lo
	v_cmp_gt_i32_e32 vcc_lo, s37, v22
	v_dual_cndmask_b32 v25, v25, v26 :: v_dual_cndmask_b32 v24, v24, v13
	global_load_b32 v13, v[24:25], off
.LBB27_33:
	s_or_b32 exec_lo, exec_lo, s0
	v_add_nc_u32_e32 v22, 0xe00, v16
	s_mov_b32 s0, exec_lo
	s_delay_alu instid0(VALU_DEP_1)
	v_cmpx_lt_i32_e64 v22, v23
	s_cbranch_execz .LBB27_35
; %bb.34:
	v_subrev_nc_u32_e32 v24, s37, v22
	v_lshlrev_b32_e32 v14, 2, v22
	s_delay_alu instid0(VALU_DEP_2) | instskip(NEXT) | instid1(VALU_DEP_2)
	v_ashrrev_i32_e32 v25, 31, v24
	v_add_co_u32 v14, vcc_lo, v20, v14
	v_add_co_ci_u32_e32 v26, vcc_lo, 0, v21, vcc_lo
	s_delay_alu instid0(VALU_DEP_3) | instskip(NEXT) | instid1(VALU_DEP_1)
	v_lshlrev_b64 v[24:25], 2, v[24:25]
	v_add_co_u32 v24, vcc_lo, v18, v24
	s_delay_alu instid0(VALU_DEP_2) | instskip(SKIP_1) | instid1(VALU_DEP_2)
	v_add_co_ci_u32_e32 v25, vcc_lo, v19, v25, vcc_lo
	v_cmp_gt_i32_e32 vcc_lo, s37, v22
	v_cndmask_b32_e32 v25, v25, v26, vcc_lo
	s_delay_alu instid0(VALU_DEP_4)
	v_cndmask_b32_e32 v24, v24, v14, vcc_lo
	global_load_b32 v14, v[24:25], off
.LBB27_35:
	s_or_b32 exec_lo, exec_lo, s0
	v_add_nc_u32_e32 v22, 0xf00, v16
	s_mov_b32 s0, exec_lo
	s_delay_alu instid0(VALU_DEP_1)
	v_cmpx_lt_i32_e64 v22, v23
	s_cbranch_execz .LBB27_37
; %bb.36:
	v_subrev_nc_u32_e32 v24, s37, v22
	v_lshlrev_b32_e32 v15, 2, v22
	s_delay_alu instid0(VALU_DEP_2) | instskip(NEXT) | instid1(VALU_DEP_2)
	v_ashrrev_i32_e32 v25, 31, v24
	v_add_co_u32 v15, vcc_lo, v20, v15
	v_add_co_ci_u32_e32 v26, vcc_lo, 0, v21, vcc_lo
	s_delay_alu instid0(VALU_DEP_3) | instskip(NEXT) | instid1(VALU_DEP_1)
	v_lshlrev_b64 v[24:25], 2, v[24:25]
	v_add_co_u32 v24, vcc_lo, v18, v24
	s_delay_alu instid0(VALU_DEP_2) | instskip(SKIP_1) | instid1(VALU_DEP_2)
	v_add_co_ci_u32_e32 v25, vcc_lo, v19, v25, vcc_lo
	v_cmp_gt_i32_e32 vcc_lo, s37, v22
	v_dual_cndmask_b32 v25, v25, v26 :: v_dual_cndmask_b32 v24, v24, v15
	global_load_b32 v15, v[24:25], off
.LBB27_37:
	s_or_b32 exec_lo, exec_lo, s0
	v_lshlrev_b32_e32 v24, 4, v16
	v_lshlrev_b32_e32 v22, 2, v16
	s_lshl_b32 s0, s37, 2
	s_mov_b32 s2, 0
	s_addk_i32 s0, 0x4800
	v_min_i32_e32 v23, v23, v24
	s_waitcnt vmcnt(0)
	ds_store_2addr_stride64_b32 v22, v0, v1 offset0:76 offset1:80
	ds_store_2addr_stride64_b32 v22, v2, v3 offset0:84 offset1:88
	s_mov_b32 s1, exec_lo
	ds_store_2addr_stride64_b32 v22, v4, v5 offset0:92 offset1:96
	ds_store_2addr_stride64_b32 v22, v6, v7 offset0:100 offset1:104
	;; [unrolled: 1-line block ×6, first 2 shown]
	v_sub_nc_u32_e32 v0, v23, v17
	v_min_i32_e32 v1, s37, v23
	s_waitcnt lgkmcnt(0)
	s_barrier
	buffer_gl0_inv
	v_max_i32_e32 v0, 0, v0
	s_delay_alu instid0(VALU_DEP_1)
	v_cmpx_lt_i32_e64 v0, v1
	s_cbranch_execz .LBB27_41
; %bb.38:
	v_lshlrev_b32_e32 v2, 2, v23
	s_delay_alu instid0(VALU_DEP_1)
	v_add3_u32 v2, s0, v2, 0x400
	.p2align	6
.LBB27_39:                              ; =>This Inner Loop Header: Depth=1
	v_add_nc_u32_e32 v3, v1, v0
	s_delay_alu instid0(VALU_DEP_1) | instskip(NEXT) | instid1(VALU_DEP_1)
	v_ashrrev_i32_e32 v3, 1, v3
	v_not_b32_e32 v4, v3
	v_add_nc_u32_e32 v6, 1, v3
	v_lshlrev_b32_e32 v5, 2, v3
	s_delay_alu instid0(VALU_DEP_3)
	v_lshl_add_u32 v4, v4, 2, v2
	ds_load_b32 v5, v5 offset:19456
	ds_load_b32 v4, v4
	s_waitcnt lgkmcnt(0)
	v_cmp_lt_i32_e32 vcc_lo, v4, v5
	v_dual_cndmask_b32 v0, v6, v0 :: v_dual_cndmask_b32 v1, v1, v3
	s_delay_alu instid0(VALU_DEP_1) | instskip(SKIP_1) | instid1(SALU_CYCLE_1)
	v_cmp_ge_i32_e32 vcc_lo, v0, v1
	s_or_b32 s2, vcc_lo, s2
	s_and_not1_b32 exec_lo, exec_lo, s2
	s_cbranch_execnz .LBB27_39
; %bb.40:
	s_or_b32 exec_lo, exec_lo, s2
.LBB27_41:
	s_delay_alu instid0(SALU_CYCLE_1) | instskip(SKIP_3) | instid1(VALU_DEP_1)
	s_or_b32 exec_lo, exec_lo, s1
	v_dual_mov_b32 v2, 0 :: v_dual_add_nc_u32 v3, 0x4800, v22
	v_sub_nc_u32_e32 v4, v23, v0
	s_mov_b32 s1, exec_lo
	v_cmpx_lt_i32_e64 v4, v17
	s_cbranch_execz .LBB27_71
; %bb.42:
	v_lshl_add_u32 v5, v4, 2, s0
	v_dual_mov_b32 v1, 0 :: v_dual_mov_b32 v6, v0
	s_mov_b32 s2, exec_lo
	ds_load_b32 v2, v5 offset:1024
	v_cmpx_lt_i32_e32 0, v0
	s_cbranch_execnz .LBB27_47
; %bb.43:
	s_or_b32 exec_lo, exec_lo, s2
	s_delay_alu instid0(SALU_CYCLE_1)
	s_mov_b32 s2, exec_lo
	v_cmpx_lt_i32_e64 v1, v6
	s_cbranch_execnz .LBB27_48
.LBB27_44:
	s_or_b32 exec_lo, exec_lo, s2
	s_delay_alu instid0(SALU_CYCLE_1)
	s_mov_b32 s2, exec_lo
	v_cmpx_lt_i32_e64 v1, v6
	s_cbranch_execnz .LBB27_49
.LBB27_45:
	s_or_b32 exec_lo, exec_lo, s2
	s_delay_alu instid0(SALU_CYCLE_1)
	s_mov_b32 s2, exec_lo
	v_cmpx_lt_i32_e64 v1, v6
	s_cbranch_execnz .LBB27_50
.LBB27_46:
	s_or_b32 exec_lo, exec_lo, s2
	s_delay_alu instid0(SALU_CYCLE_1)
	s_mov_b32 s2, exec_lo
	v_cmpx_lt_i32_e64 v1, v6
	s_cbranch_execnz .LBB27_51
	s_branch .LBB27_54
.LBB27_47:
	v_mul_lo_u32 v1, 0x1ff, v0
	s_delay_alu instid0(VALU_DEP_1) | instskip(NEXT) | instid1(VALU_DEP_1)
	v_ashrrev_i32_e32 v6, 9, v1
	v_lshlrev_b32_e32 v1, 2, v6
	v_add_nc_u32_e32 v7, 1, v6
	ds_load_b32 v1, v1 offset:19456
	s_waitcnt lgkmcnt(0)
	v_cmp_lt_i32_e32 vcc_lo, v1, v2
	v_dual_cndmask_b32 v6, v6, v0 :: v_dual_cndmask_b32 v1, 0, v7
	s_or_b32 exec_lo, exec_lo, s2
	s_delay_alu instid0(SALU_CYCLE_1) | instskip(NEXT) | instid1(VALU_DEP_1)
	s_mov_b32 s2, exec_lo
	v_cmpx_lt_i32_e64 v1, v6
	s_cbranch_execz .LBB27_44
.LBB27_48:
	v_sub_nc_u32_e32 v7, v1, v6
	s_delay_alu instid0(VALU_DEP_1) | instskip(NEXT) | instid1(VALU_DEP_1)
	v_lshl_add_u32 v7, v6, 7, v7
	v_ashrrev_i32_e32 v7, 7, v7
	s_delay_alu instid0(VALU_DEP_1)
	v_add_nc_u32_e32 v9, 1, v7
	v_lshlrev_b32_e32 v8, 2, v7
	ds_load_b32 v8, v8 offset:19456
	s_waitcnt lgkmcnt(0)
	v_cmp_lt_i32_e32 vcc_lo, v8, v2
	v_dual_cndmask_b32 v6, v7, v6 :: v_dual_cndmask_b32 v1, v1, v9
	s_or_b32 exec_lo, exec_lo, s2
	s_delay_alu instid0(SALU_CYCLE_1) | instskip(NEXT) | instid1(VALU_DEP_1)
	s_mov_b32 s2, exec_lo
	v_cmpx_lt_i32_e64 v1, v6
	s_cbranch_execz .LBB27_45
.LBB27_49:
	v_sub_nc_u32_e32 v7, v1, v6
	s_delay_alu instid0(VALU_DEP_1) | instskip(NEXT) | instid1(VALU_DEP_1)
	v_lshl_add_u32 v7, v6, 5, v7
	v_ashrrev_i32_e32 v7, 5, v7
	s_delay_alu instid0(VALU_DEP_1)
	v_add_nc_u32_e32 v9, 1, v7
	v_lshlrev_b32_e32 v8, 2, v7
	ds_load_b32 v8, v8 offset:19456
	s_waitcnt lgkmcnt(0)
	v_cmp_lt_i32_e32 vcc_lo, v8, v2
	v_dual_cndmask_b32 v6, v7, v6 :: v_dual_cndmask_b32 v1, v1, v9
	s_or_b32 exec_lo, exec_lo, s2
	s_delay_alu instid0(SALU_CYCLE_1) | instskip(NEXT) | instid1(VALU_DEP_1)
	s_mov_b32 s2, exec_lo
	v_cmpx_lt_i32_e64 v1, v6
	s_cbranch_execz .LBB27_46
.LBB27_50:
	v_sub_nc_u32_e32 v7, v1, v6
	s_delay_alu instid0(VALU_DEP_1) | instskip(NEXT) | instid1(VALU_DEP_1)
	v_lshl_add_u32 v7, v6, 4, v7
	v_ashrrev_i32_e32 v7, 4, v7
	s_delay_alu instid0(VALU_DEP_1)
	v_add_nc_u32_e32 v9, 1, v7
	v_lshlrev_b32_e32 v8, 2, v7
	ds_load_b32 v8, v8 offset:19456
	s_waitcnt lgkmcnt(0)
	v_cmp_lt_i32_e32 vcc_lo, v8, v2
	v_dual_cndmask_b32 v6, v7, v6 :: v_dual_cndmask_b32 v1, v1, v9
	s_or_b32 exec_lo, exec_lo, s2
	s_delay_alu instid0(SALU_CYCLE_1) | instskip(NEXT) | instid1(VALU_DEP_1)
	s_mov_b32 s2, exec_lo
	v_cmpx_lt_i32_e64 v1, v6
	s_cbranch_execz .LBB27_54
.LBB27_51:
	s_mov_b32 s3, 0
.LBB27_52:                              ; =>This Inner Loop Header: Depth=1
	v_sub_nc_u32_e32 v7, v1, v6
	s_delay_alu instid0(VALU_DEP_1) | instskip(NEXT) | instid1(VALU_DEP_1)
	v_lshl_add_u32 v7, v6, 1, v7
	v_ashrrev_i32_e32 v7, 1, v7
	s_delay_alu instid0(VALU_DEP_1)
	v_add_nc_u32_e32 v9, 1, v7
	v_lshlrev_b32_e32 v8, 2, v7
	ds_load_b32 v8, v8 offset:19456
	s_waitcnt lgkmcnt(0)
	v_cmp_lt_i32_e32 vcc_lo, v8, v2
	v_dual_cndmask_b32 v6, v7, v6 :: v_dual_cndmask_b32 v1, v1, v9
	s_delay_alu instid0(VALU_DEP_1) | instskip(SKIP_1) | instid1(SALU_CYCLE_1)
	v_cmp_ge_i32_e32 vcc_lo, v1, v6
	s_or_b32 s3, vcc_lo, s3
	s_and_not1_b32 exec_lo, exec_lo, s3
	s_cbranch_execnz .LBB27_52
; %bb.53:
	s_or_b32 exec_lo, exec_lo, s3
.LBB27_54:
	s_delay_alu instid0(SALU_CYCLE_1)
	s_or_b32 exec_lo, exec_lo, s2
	v_dual_mov_b32 v6, 0 :: v_dual_add_nc_u32 v5, 0x400, v5
	v_mov_b32_e32 v7, v4
	s_mov_b32 s2, exec_lo
	v_cmpx_lt_i32_e32 0, v4
	s_cbranch_execnz .LBB27_59
; %bb.55:
	s_or_b32 exec_lo, exec_lo, s2
	s_delay_alu instid0(SALU_CYCLE_1)
	s_mov_b32 s2, exec_lo
	v_cmpx_lt_i32_e64 v6, v7
	s_cbranch_execnz .LBB27_60
.LBB27_56:
	s_or_b32 exec_lo, exec_lo, s2
	s_delay_alu instid0(SALU_CYCLE_1)
	s_mov_b32 s2, exec_lo
	v_cmpx_lt_i32_e64 v6, v7
	s_cbranch_execnz .LBB27_61
.LBB27_57:
	s_or_b32 exec_lo, exec_lo, s2
	s_delay_alu instid0(SALU_CYCLE_1)
	s_mov_b32 s2, exec_lo
	v_cmpx_lt_i32_e64 v6, v7
	s_cbranch_execnz .LBB27_62
.LBB27_58:
	s_or_b32 exec_lo, exec_lo, s2
	s_delay_alu instid0(SALU_CYCLE_1)
	s_mov_b32 s2, exec_lo
	v_cmpx_lt_i32_e64 v6, v7
	s_cbranch_execnz .LBB27_63
	s_branch .LBB27_66
.LBB27_59:
	v_mul_lo_u32 v6, 0x1ff, v4
	s_delay_alu instid0(VALU_DEP_1) | instskip(NEXT) | instid1(VALU_DEP_1)
	v_ashrrev_i32_e32 v7, 9, v6
	v_lshl_add_u32 v6, v7, 2, s0
	ds_load_b32 v6, v6 offset:1024
	s_waitcnt lgkmcnt(0)
	v_cmp_lt_i32_e32 vcc_lo, v6, v2
	v_dual_cndmask_b32 v7, v7, v4 :: v_dual_add_nc_u32 v8, 1, v7
	s_delay_alu instid0(VALU_DEP_1) | instskip(SKIP_1) | instid1(SALU_CYCLE_1)
	v_cndmask_b32_e32 v6, 0, v8, vcc_lo
	s_or_b32 exec_lo, exec_lo, s2
	s_mov_b32 s2, exec_lo
	s_delay_alu instid0(VALU_DEP_1)
	v_cmpx_lt_i32_e64 v6, v7
	s_cbranch_execz .LBB27_56
.LBB27_60:
	v_sub_nc_u32_e32 v8, v6, v7
	s_delay_alu instid0(VALU_DEP_1) | instskip(NEXT) | instid1(VALU_DEP_1)
	v_lshl_add_u32 v8, v7, 7, v8
	v_ashrrev_i32_e32 v8, 7, v8
	s_delay_alu instid0(VALU_DEP_1) | instskip(SKIP_4) | instid1(VALU_DEP_1)
	v_lshl_add_u32 v9, v8, 2, s0
	ds_load_b32 v9, v9 offset:1024
	s_waitcnt lgkmcnt(0)
	v_cmp_lt_i32_e32 vcc_lo, v9, v2
	v_dual_cndmask_b32 v7, v8, v7 :: v_dual_add_nc_u32 v10, 1, v8
	v_cndmask_b32_e32 v6, v6, v10, vcc_lo
	s_or_b32 exec_lo, exec_lo, s2
	s_delay_alu instid0(SALU_CYCLE_1) | instskip(NEXT) | instid1(VALU_DEP_1)
	s_mov_b32 s2, exec_lo
	v_cmpx_lt_i32_e64 v6, v7
	s_cbranch_execz .LBB27_57
.LBB27_61:
	v_sub_nc_u32_e32 v8, v6, v7
	s_delay_alu instid0(VALU_DEP_1) | instskip(NEXT) | instid1(VALU_DEP_1)
	v_lshl_add_u32 v8, v7, 5, v8
	v_ashrrev_i32_e32 v8, 5, v8
	s_delay_alu instid0(VALU_DEP_1) | instskip(SKIP_4) | instid1(VALU_DEP_1)
	v_lshl_add_u32 v9, v8, 2, s0
	ds_load_b32 v9, v9 offset:1024
	s_waitcnt lgkmcnt(0)
	v_cmp_lt_i32_e32 vcc_lo, v9, v2
	v_dual_cndmask_b32 v7, v8, v7 :: v_dual_add_nc_u32 v10, 1, v8
	v_cndmask_b32_e32 v6, v6, v10, vcc_lo
	s_or_b32 exec_lo, exec_lo, s2
	s_delay_alu instid0(SALU_CYCLE_1) | instskip(NEXT) | instid1(VALU_DEP_1)
	s_mov_b32 s2, exec_lo
	v_cmpx_lt_i32_e64 v6, v7
	s_cbranch_execz .LBB27_58
.LBB27_62:
	v_sub_nc_u32_e32 v8, v6, v7
	s_delay_alu instid0(VALU_DEP_1) | instskip(NEXT) | instid1(VALU_DEP_1)
	v_lshl_add_u32 v8, v7, 4, v8
	v_ashrrev_i32_e32 v8, 4, v8
	s_delay_alu instid0(VALU_DEP_1) | instskip(SKIP_4) | instid1(VALU_DEP_1)
	v_lshl_add_u32 v9, v8, 2, s0
	ds_load_b32 v9, v9 offset:1024
	s_waitcnt lgkmcnt(0)
	v_cmp_lt_i32_e32 vcc_lo, v9, v2
	v_dual_cndmask_b32 v7, v8, v7 :: v_dual_add_nc_u32 v10, 1, v8
	v_cndmask_b32_e32 v6, v6, v10, vcc_lo
	s_or_b32 exec_lo, exec_lo, s2
	s_delay_alu instid0(SALU_CYCLE_1) | instskip(NEXT) | instid1(VALU_DEP_1)
	s_mov_b32 s2, exec_lo
	v_cmpx_lt_i32_e64 v6, v7
	s_cbranch_execz .LBB27_66
.LBB27_63:
	s_add_i32 s3, s0, 0x400
	s_mov_b32 s0, 0
.LBB27_64:                              ; =>This Inner Loop Header: Depth=1
	v_sub_nc_u32_e32 v8, v6, v7
	s_delay_alu instid0(VALU_DEP_1) | instskip(NEXT) | instid1(VALU_DEP_1)
	v_lshl_add_u32 v8, v7, 1, v8
	v_ashrrev_i32_e32 v8, 1, v8
	s_delay_alu instid0(VALU_DEP_1) | instskip(SKIP_4) | instid1(VALU_DEP_1)
	v_lshl_add_u32 v9, v8, 2, s3
	ds_load_b32 v9, v9
	s_waitcnt lgkmcnt(0)
	v_cmp_lt_i32_e32 vcc_lo, v9, v2
	v_dual_cndmask_b32 v7, v8, v7 :: v_dual_add_nc_u32 v10, 1, v8
	v_cndmask_b32_e32 v6, v6, v10, vcc_lo
	s_delay_alu instid0(VALU_DEP_1) | instskip(SKIP_1) | instid1(SALU_CYCLE_1)
	v_cmp_ge_i32_e32 vcc_lo, v6, v7
	s_or_b32 s0, vcc_lo, s0
	s_and_not1_b32 exec_lo, exec_lo, s0
	s_cbranch_execnz .LBB27_64
; %bb.65:
	s_or_b32 exec_lo, exec_lo, s0
.LBB27_66:
	s_delay_alu instid0(SALU_CYCLE_1) | instskip(SKIP_4) | instid1(VALU_DEP_1)
	s_or_b32 exec_lo, exec_lo, s2
	v_sub_nc_u32_e32 v0, v0, v1
	v_sub_nc_u32_e32 v8, v4, v6
	s_mov_b32 s2, 0
	s_mov_b32 s0, exec_lo
	v_add_nc_u32_e32 v7, v8, v0
	s_delay_alu instid0(VALU_DEP_1) | instskip(NEXT) | instid1(VALU_DEP_1)
	v_ashrrev_i32_e32 v0, 1, v7
	v_max_i32_e32 v0, v0, v8
	s_delay_alu instid0(VALU_DEP_1) | instskip(NEXT) | instid1(VALU_DEP_1)
	v_add3_u32 v6, v6, v0, 1
	v_min_i32_e32 v6, v6, v17
	s_delay_alu instid0(VALU_DEP_1) | instskip(SKIP_1) | instid1(VALU_DEP_2)
	v_sub_nc_u32_e32 v6, v6, v4
	v_mov_b32_e32 v4, 0
	v_cmpx_lt_i32_e32 0, v6
	s_cbranch_execz .LBB27_70
; %bb.67:
	v_mov_b32_e32 v4, 0
.LBB27_68:                              ; =>This Inner Loop Header: Depth=1
	s_delay_alu instid0(VALU_DEP_1) | instskip(NEXT) | instid1(VALU_DEP_1)
	v_add_nc_u32_e32 v9, v4, v6
	v_ashrrev_i32_e32 v9, 1, v9
	s_delay_alu instid0(VALU_DEP_1)
	v_lshl_add_u32 v10, v9, 2, v5
	v_add_nc_u32_e32 v11, 1, v9
	ds_load_b32 v10, v10
	s_waitcnt lgkmcnt(0)
	v_cmp_gt_i32_e32 vcc_lo, v10, v2
	v_cndmask_b32_e32 v4, v11, v4, vcc_lo
	v_cndmask_b32_e32 v6, v6, v9, vcc_lo
	s_delay_alu instid0(VALU_DEP_1) | instskip(SKIP_1) | instid1(SALU_CYCLE_1)
	v_cmp_ge_i32_e32 vcc_lo, v4, v6
	s_or_b32 s2, vcc_lo, s2
	s_and_not1_b32 exec_lo, exec_lo, s2
	s_cbranch_execnz .LBB27_68
; %bb.69:
	s_or_b32 exec_lo, exec_lo, s2
.LBB27_70:
	s_delay_alu instid0(SALU_CYCLE_1) | instskip(SKIP_2) | instid1(VALU_DEP_1)
	s_or_b32 exec_lo, exec_lo, s0
	s_waitcnt lgkmcnt(0)
	v_add_nc_u32_e32 v2, v4, v8
	v_min_i32_e32 v4, v2, v0
	v_cmp_lt_i32_e32 vcc_lo, v0, v2
	s_delay_alu instid0(VALU_DEP_2) | instskip(SKIP_1) | instid1(VALU_DEP_2)
	v_sub_nc_u32_e32 v5, v7, v4
	v_add_nc_u32_e32 v4, 1, v4
	v_add_nc_u32_e32 v0, v5, v1
	s_delay_alu instid0(VALU_DEP_2) | instskip(NEXT) | instid1(VALU_DEP_1)
	v_cmp_eq_u32_e64 s0, v5, v4
	s_and_b32 s0, vcc_lo, s0
	s_delay_alu instid0(SALU_CYCLE_1)
	v_cndmask_b32_e64 v2, 0, 1, s0
.LBB27_71:
	s_or_b32 exec_lo, exec_lo, s1
	s_delay_alu instid0(VALU_DEP_1)
	v_add_nc_u32_e32 v1, v2, v23
	s_lshl_b32 s0, s37, 16
	v_add_nc_u32_e32 v2, -1, v16
	v_or_b32_e32 v4, s0, v17
	v_cmp_eq_u32_e64 s0, 0, v16
	v_sub_nc_u32_e32 v7, v1, v0
	v_lshlrev_b32_e32 v6, 2, v0
	s_delay_alu instid0(VALU_DEP_2) | instskip(NEXT) | instid1(VALU_DEP_1)
	v_lshl_or_b32 v5, v0, 16, v7
	v_cndmask_b32_e64 v4, v5, v4, s0
	v_cndmask_b32_e64 v5, v2, 0xff, s0
	v_add_nc_u32_e32 v2, s37, v7
	s_delay_alu instid0(VALU_DEP_2) | instskip(NEXT) | instid1(VALU_DEP_2)
	v_lshlrev_b32_e32 v8, 2, v5
	v_lshlrev_b32_e32 v5, 2, v2
	ds_store_b32 v8, v4 offset:18432
	s_waitcnt lgkmcnt(0)
	s_barrier
	buffer_gl0_inv
	ds_load_b32 v4, v3
	ds_load_b32 v15, v6 offset:19456
	ds_load_b32 v23, v5 offset:19456
	s_waitcnt lgkmcnt(1)
	v_dual_mov_b32 v24, v15 :: v_dual_and_b32 v3, 0xffff, v4
	v_ashrrev_i32_e32 v4, 16, v4
	s_waitcnt lgkmcnt(0)
	v_cmp_lt_i32_e32 vcc_lo, v23, v15
	s_delay_alu instid0(VALU_DEP_3) | instskip(NEXT) | instid1(VALU_DEP_3)
	v_cmp_le_i32_e64 s1, v3, v7
	v_cmp_le_i32_e64 s3, v4, v0
	v_cndmask_b32_e64 v8, 0, 1, vcc_lo
	s_delay_alu instid0(VALU_DEP_2) | instskip(NEXT) | instid1(VALU_DEP_4)
	v_cndmask_b32_e64 v7, 0, 1, s3
	s_or_b32 s2, s3, s1
	s_delay_alu instid0(VALU_DEP_1) | instid1(SALU_CYCLE_1)
	v_cndmask_b32_e64 v7, v8, v7, s2
	s_delay_alu instid0(VALU_DEP_1) | instskip(NEXT) | instid1(VALU_DEP_1)
	v_and_b32_e32 v7, 1, v7
	v_cmp_eq_u32_e32 vcc_lo, 1, v7
	s_xor_b32 s5, vcc_lo, -1
	s_delay_alu instid0(SALU_CYCLE_1)
	s_and_saveexec_b32 s4, s5
	s_cbranch_execz .LBB27_73
; %bb.72:
	ds_load_b32 v24, v6 offset:19460
	v_add_nc_u32_e32 v0, 1, v0
.LBB27_73:
	s_or_b32 exec_lo, exec_lo, s4
	s_xor_b32 s4, s3, -1
	v_cmp_lt_i32_e64 s3, v15, v23
	s_and_b32 s1, s1, s4
	v_mov_b32_e32 v25, v23
	v_cndmask_b32_e64 v7, 0, 1, s1
	s_delay_alu instid0(VALU_DEP_3) | instskip(NEXT) | instid1(VALU_DEP_1)
	v_cndmask_b32_e64 v6, 0, 1, s3
	v_cndmask_b32_e64 v6, v6, v7, s2
	s_delay_alu instid0(VALU_DEP_1) | instskip(NEXT) | instid1(VALU_DEP_1)
	v_and_b32_e32 v6, 1, v6
	v_cmp_eq_u32_e64 s1, 1, v6
	s_delay_alu instid0(VALU_DEP_1) | instskip(NEXT) | instid1(SALU_CYCLE_1)
	s_xor_b32 s3, s1, -1
	s_and_saveexec_b32 s2, s3
	s_cbranch_execz .LBB27_75
; %bb.74:
	ds_load_b32 v25, v5 offset:19460
	v_add_nc_u32_e32 v2, 1, v2
.LBB27_75:
	s_or_b32 exec_lo, exec_lo, s2
	s_waitcnt lgkmcnt(0)
	v_dual_mov_b32 v26, v24 :: v_dual_add_nc_u32 v7, s37, v3
	v_cmp_ge_i32_e64 s2, v0, v4
	v_cmp_lt_i32_e64 s4, v25, v24
	s_delay_alu instid0(VALU_DEP_3) | instskip(NEXT) | instid1(VALU_DEP_3)
	v_cmp_ge_i32_e64 s3, v2, v7
	v_cndmask_b32_e64 v3, 0, 1, s2
	s_delay_alu instid0(VALU_DEP_3) | instskip(NEXT) | instid1(VALU_DEP_3)
	v_cndmask_b32_e64 v5, 0, 1, s4
	s_or_b32 s4, s2, s3
	s_delay_alu instid0(VALU_DEP_1) | instid1(SALU_CYCLE_1)
	v_cndmask_b32_e64 v3, v5, v3, s4
	s_delay_alu instid0(VALU_DEP_1) | instskip(NEXT) | instid1(VALU_DEP_1)
	v_and_b32_e32 v3, 1, v3
	v_cmp_eq_u32_e64 s17, 1, v3
	v_mov_b32_e32 v3, v0
	s_delay_alu instid0(VALU_DEP_2) | instskip(NEXT) | instid1(SALU_CYCLE_1)
	s_xor_b32 s5, s17, -1
	s_and_saveexec_b32 s4, s5
	s_cbranch_execz .LBB27_77
; %bb.76:
	v_lshlrev_b32_e32 v3, 2, v0
	ds_load_b32 v26, v3 offset:19460
	v_add_nc_u32_e32 v3, 1, v0
.LBB27_77:
	s_or_b32 exec_lo, exec_lo, s4
	v_cmp_lt_i32_e64 s4, v24, v25
	s_xor_b32 s2, s2, -1
	v_mov_b32_e32 v27, v25
	v_mov_b32_e32 v5, v2
	s_delay_alu instid0(VALU_DEP_3) | instskip(NEXT) | instid1(SALU_CYCLE_1)
	s_or_b32 s3, s3, s4
	s_and_b32 s2, s2, s3
	s_delay_alu instid0(SALU_CYCLE_1) | instskip(NEXT) | instid1(SALU_CYCLE_1)
	s_xor_b32 s4, s2, -1
	s_and_saveexec_b32 s3, s4
	s_cbranch_execz .LBB27_79
; %bb.78:
	v_lshlrev_b32_e32 v5, 2, v2
	ds_load_b32 v27, v5 offset:19460
	v_add_nc_u32_e32 v5, 1, v2
.LBB27_79:
	s_or_b32 exec_lo, exec_lo, s3
	v_cmp_ge_i32_e64 s4, v3, v4
	s_waitcnt lgkmcnt(0)
	v_cmp_lt_i32_e64 s5, v27, v26
	v_cmp_ge_i32_e64 s3, v5, v7
	v_mov_b32_e32 v28, v26
	v_cndmask_b32_e64 v6, 0, 1, s4
	s_delay_alu instid0(VALU_DEP_4) | instskip(NEXT) | instid1(VALU_DEP_4)
	v_cndmask_b32_e64 v8, 0, 1, s5
	s_or_b32 s5, s4, s3
	s_delay_alu instid0(VALU_DEP_1) | instid1(SALU_CYCLE_1)
	v_cndmask_b32_e64 v6, v8, v6, s5
	s_delay_alu instid0(VALU_DEP_1) | instskip(NEXT) | instid1(VALU_DEP_1)
	v_and_b32_e32 v6, 1, v6
	v_cmp_eq_u32_e64 s18, 1, v6
	v_mov_b32_e32 v6, v3
	s_delay_alu instid0(VALU_DEP_2) | instskip(NEXT) | instid1(SALU_CYCLE_1)
	s_xor_b32 s6, s18, -1
	s_and_saveexec_b32 s5, s6
	s_cbranch_execz .LBB27_81
; %bb.80:
	v_lshlrev_b32_e32 v6, 2, v3
	ds_load_b32 v28, v6 offset:19460
	v_add_nc_u32_e32 v6, 1, v3
.LBB27_81:
	s_or_b32 exec_lo, exec_lo, s5
	v_cmp_lt_i32_e64 s5, v26, v27
	s_xor_b32 s4, s4, -1
	v_dual_mov_b32 v29, v27 :: v_dual_mov_b32 v8, v5
	s_delay_alu instid0(VALU_DEP_2) | instskip(NEXT) | instid1(SALU_CYCLE_1)
	s_or_b32 s3, s3, s5
	s_and_b32 s3, s4, s3
	s_delay_alu instid0(SALU_CYCLE_1) | instskip(NEXT) | instid1(SALU_CYCLE_1)
	s_xor_b32 s5, s3, -1
	s_and_saveexec_b32 s4, s5
	s_cbranch_execz .LBB27_83
; %bb.82:
	v_lshlrev_b32_e32 v8, 2, v5
	ds_load_b32 v29, v8 offset:19460
	v_add_nc_u32_e32 v8, 1, v5
.LBB27_83:
	s_or_b32 exec_lo, exec_lo, s4
	v_cmp_ge_i32_e64 s5, v6, v4
	s_waitcnt lgkmcnt(0)
	v_cmp_lt_i32_e64 s6, v29, v28
	v_cmp_ge_i32_e64 s4, v8, v7
	v_mov_b32_e32 v30, v28
	v_cndmask_b32_e64 v9, 0, 1, s5
	s_delay_alu instid0(VALU_DEP_4) | instskip(NEXT) | instid1(VALU_DEP_4)
	v_cndmask_b32_e64 v10, 0, 1, s6
	s_or_b32 s6, s5, s4
	s_delay_alu instid0(VALU_DEP_1) | instid1(SALU_CYCLE_1)
	v_cndmask_b32_e64 v9, v10, v9, s6
	s_delay_alu instid0(VALU_DEP_1) | instskip(NEXT) | instid1(VALU_DEP_1)
	v_and_b32_e32 v9, 1, v9
	v_cmp_eq_u32_e64 s19, 1, v9
	v_mov_b32_e32 v9, v6
	s_delay_alu instid0(VALU_DEP_2) | instskip(NEXT) | instid1(SALU_CYCLE_1)
	s_xor_b32 s7, s19, -1
	s_and_saveexec_b32 s6, s7
	s_cbranch_execz .LBB27_85
; %bb.84:
	v_lshlrev_b32_e32 v9, 2, v6
	ds_load_b32 v30, v9 offset:19460
	v_add_nc_u32_e32 v9, 1, v6
.LBB27_85:
	s_or_b32 exec_lo, exec_lo, s6
	v_cmp_lt_i32_e64 s6, v28, v29
	s_xor_b32 s5, s5, -1
	v_dual_mov_b32 v31, v29 :: v_dual_mov_b32 v10, v8
	s_delay_alu instid0(VALU_DEP_2) | instskip(NEXT) | instid1(SALU_CYCLE_1)
	;; [unrolled: 41-line block ×4, first 2 shown]
	s_or_b32 s6, s6, s8
	s_and_b32 s6, s7, s6
	s_delay_alu instid0(SALU_CYCLE_1) | instskip(NEXT) | instid1(SALU_CYCLE_1)
	s_xor_b32 s8, s6, -1
	s_and_saveexec_b32 s7, s8
	s_cbranch_execz .LBB27_95
; %bb.94:
	v_lshlrev_b32_e32 v14, 2, v12
	ds_load_b32 v35, v14 offset:19460
	v_add_nc_u32_e32 v14, 1, v12
.LBB27_95:
	s_or_b32 exec_lo, exec_lo, s7
	v_cmp_ge_i32_e64 s8, v13, v4
	s_waitcnt lgkmcnt(0)
	v_cmp_lt_i32_e64 s9, v35, v34
	v_cmp_ge_i32_e64 s7, v14, v7
	v_mov_b32_e32 v54, v13
	v_cndmask_b32_e64 v36, 0, 1, s8
	s_delay_alu instid0(VALU_DEP_4) | instskip(NEXT) | instid1(VALU_DEP_4)
	v_cndmask_b32_e64 v37, 0, 1, s9
	s_or_b32 s9, s8, s7
	s_delay_alu instid0(VALU_DEP_1) | instid1(SALU_CYCLE_1)
	v_cndmask_b32_e64 v36, v37, v36, s9
	s_delay_alu instid0(VALU_DEP_1) | instskip(NEXT) | instid1(VALU_DEP_1)
	v_and_b32_e32 v36, 1, v36
	v_cmp_eq_u32_e64 s22, 1, v36
	v_mov_b32_e32 v36, v34
	s_delay_alu instid0(VALU_DEP_2) | instskip(NEXT) | instid1(SALU_CYCLE_1)
	s_xor_b32 s10, s22, -1
	s_and_saveexec_b32 s9, s10
	s_cbranch_execz .LBB27_97
; %bb.96:
	v_lshlrev_b32_e32 v36, 2, v13
	v_add_nc_u32_e32 v54, 1, v13
	ds_load_b32 v36, v36 offset:19460
.LBB27_97:
	s_or_b32 exec_lo, exec_lo, s9
	v_cmp_lt_i32_e64 s9, v34, v35
	s_xor_b32 s8, s8, -1
	v_mov_b32_e32 v37, v35
	v_mov_b32_e32 v55, v14
	s_delay_alu instid0(VALU_DEP_3) | instskip(NEXT) | instid1(SALU_CYCLE_1)
	s_or_b32 s7, s7, s9
	s_and_b32 s7, s8, s7
	s_delay_alu instid0(SALU_CYCLE_1) | instskip(NEXT) | instid1(SALU_CYCLE_1)
	s_xor_b32 s9, s7, -1
	s_and_saveexec_b32 s8, s9
	s_cbranch_execz .LBB27_99
; %bb.98:
	v_lshlrev_b32_e32 v37, 2, v14
	v_add_nc_u32_e32 v55, 1, v14
	ds_load_b32 v37, v37 offset:19460
.LBB27_99:
	s_or_b32 exec_lo, exec_lo, s8
	v_cmp_ge_i32_e64 s9, v54, v4
	s_waitcnt lgkmcnt(0)
	v_cmp_lt_i32_e64 s10, v37, v36
	v_cmp_ge_i32_e64 s8, v55, v7
	v_mov_b32_e32 v56, v54
	v_cndmask_b32_e64 v38, 0, 1, s9
	s_delay_alu instid0(VALU_DEP_4) | instskip(NEXT) | instid1(VALU_DEP_4)
	v_cndmask_b32_e64 v39, 0, 1, s10
	s_or_b32 s10, s9, s8
	s_delay_alu instid0(VALU_DEP_1) | instid1(SALU_CYCLE_1)
	v_cndmask_b32_e64 v38, v39, v38, s10
	s_delay_alu instid0(VALU_DEP_1) | instskip(NEXT) | instid1(VALU_DEP_1)
	v_and_b32_e32 v38, 1, v38
	v_cmp_eq_u32_e64 s23, 1, v38
	v_mov_b32_e32 v38, v36
	s_delay_alu instid0(VALU_DEP_2) | instskip(NEXT) | instid1(SALU_CYCLE_1)
	s_xor_b32 s11, s23, -1
	s_and_saveexec_b32 s10, s11
	s_cbranch_execz .LBB27_101
; %bb.100:
	v_lshlrev_b32_e32 v38, 2, v54
	v_add_nc_u32_e32 v56, 1, v54
	ds_load_b32 v38, v38 offset:19460
.LBB27_101:
	s_or_b32 exec_lo, exec_lo, s10
	v_cmp_lt_i32_e64 s10, v36, v37
	s_xor_b32 s9, s9, -1
	v_mov_b32_e32 v39, v37
	v_mov_b32_e32 v57, v55
	s_delay_alu instid0(VALU_DEP_3) | instskip(NEXT) | instid1(SALU_CYCLE_1)
	s_or_b32 s8, s8, s10
	s_and_b32 s8, s9, s8
	s_delay_alu instid0(SALU_CYCLE_1) | instskip(NEXT) | instid1(SALU_CYCLE_1)
	s_xor_b32 s10, s8, -1
	s_and_saveexec_b32 s9, s10
	s_cbranch_execz .LBB27_103
; %bb.102:
	v_lshlrev_b32_e32 v39, 2, v55
	v_add_nc_u32_e32 v57, 1, v55
	ds_load_b32 v39, v39 offset:19460
.LBB27_103:
	;; [unrolled: 42-line block ×9, first 2 shown]
	s_or_b32 exec_lo, exec_lo, s16
	v_cmp_ge_i32_e64 s31, v70, v4
	s_waitcnt lgkmcnt(0)
	v_cmp_lt_i32_e64 s33, v53, v52
	v_cmp_ge_i32_e64 s16, v71, v7
	s_xor_b32 s50, s28, s13
	v_add_nc_u32_e32 v3, v5, v3
	v_cndmask_b32_e64 v72, 0, 1, s31
	v_cndmask_b32_e64 v73, 0, 1, s33
	s_or_b32 s31, s31, s16
	v_cmp_lt_i32_e64 s33, v52, v53
	s_xor_b32 s52, s26, s11
	v_add_nc_u32_e32 v0, v2, v0
	v_cndmask_b32_e64 v72, v73, v72, s31
	v_cmp_lt_i32_e64 s31, v70, v4
	v_add_nc_u32_e32 v4, v7, v4
	v_add_nc_u32_e32 v7, v69, v68
	s_or_b32 s16, s16, s33
	v_add_nc_u32_e32 v70, v71, v70
	s_and_b32 s16, s31, s16
	v_and_b32_e32 v71, 1, v72
	v_cmp_lt_i32_e64 s31, v7, v4
	v_add_nc_u32_e32 v7, v63, v62
	v_cmp_lt_i32_e64 s36, v3, v4
	v_add_nc_u32_e32 v1, s37, v1
	v_cmp_eq_u32_e64 s34, 1, v71
	s_xor_b32 s57, s19, s4
	v_cmp_lt_i32_e64 s28, v7, v4
	v_add_nc_u32_e32 v7, v59, v58
	s_xor_b32 s19, s18, s3
	s_xor_b32 s47, s34, s16
	v_add_nc_u32_e32 v6, v8, v6
	v_cmp_lt_i32_e64 s18, v0, v4
	v_cmp_lt_i32_e64 s26, v7, v4
	v_add_nc_u32_e32 v7, v55, v54
	s_and_b32 s36, s36, s19
	v_cmp_lt_i32_e64 s19, v1, v4
	s_xor_b32 s17, s17, s2
	s_xor_b32 s46, vcc_lo, s1
	v_cmp_lt_i32_e64 s34, v7, v4
	v_add_nc_u32_e32 v7, v10, v9
	v_mov_b32_e32 v9, 0
	v_add_nc_u32_e32 v13, v14, v13
	v_add_nc_u32_e32 v11, v12, v11
	s_xor_b32 s55, s21, s6
	v_cmp_lt_i32_e64 s21, v7, v4
	s_xor_b32 s56, s20, s5
	v_cmp_lt_i32_e64 s20, v6, v4
	s_and_b32 s45, s18, s17
	s_and_b32 s46, s19, s46
	v_add_nc_u32_e32 v66, v67, v66
	v_add_nc_u32_e32 v64, v65, v64
	;; [unrolled: 1-line block ×4, first 2 shown]
	v_cndmask_b32_e64 v0, 0, 4, s36
	v_cndmask_b32_e64 v1, 0, 2, s45
	;; [unrolled: 1-line block ×3, first 2 shown]
	v_cmp_lt_i32_e64 s35, v13, v4
	s_xor_b32 s54, s22, s7
	v_cmp_lt_i32_e64 s22, v11, v4
	s_and_b32 s19, s21, s56
	s_and_b32 s20, s20, s57
	v_cmp_lt_i32_e64 s33, v70, v4
	s_xor_b32 s48, s30, s15
	v_cmp_lt_i32_e64 s30, v66, v4
	s_xor_b32 s49, s29, s14
	;; [unrolled: 2-line block ×4, first 2 shown]
	v_cmp_lt_i32_e64 s25, v56, v4
	v_cndmask_b32_e64 v3, 0, 16, s19
	v_cndmask_b32_e64 v4, 0, 8, s20
	v_or3_b32 v0, v1, v2, v0
	s_and_b32 s17, s35, s54
	s_and_b32 s18, s22, s55
	v_cndmask_b32_e64 v1, 0, 64, s17
	v_cndmask_b32_e64 v2, 0, 32, s18
	v_or3_b32 v0, v0, v4, v3
	s_xor_b32 s17, s23, s8
	s_xor_b32 s21, s24, s9
	s_and_b32 s17, s34, s17
	s_delay_alu instid0(SALU_CYCLE_1)
	v_cndmask_b32_e64 v3, 0, 0x80, s17
	v_or3_b32 v59, v0, v2, v1
	s_and_b32 s17, s26, s53
	s_barrier
	v_cndmask_b32_e64 v0, 0, 0x200, s17
	s_and_b32 s17, s25, s21
	v_or_b32_e32 v58, v3, v59
	v_cndmask_b32_e64 v1, 0, 0x100, s17
	s_and_b32 s17, s28, s51
	buffer_gl0_inv
	v_cndmask_b32_e64 v2, 0, 0x800, s17
	s_and_b32 s17, s27, s52
	v_or3_b32 v57, v1, v0, v58
	v_cndmask_b32_e64 v3, 0, 0x400, s17
	s_and_b32 s17, s30, s49
	s_delay_alu instid0(SALU_CYCLE_1) | instskip(SKIP_1) | instid1(VALU_DEP_2)
	v_cndmask_b32_e64 v0, 0, 0x2000, s17
	s_and_b32 s17, s29, s50
	v_or3_b32 v56, v3, v2, v57
	v_cndmask_b32_e64 v1, 0, 0x1000, s17
	s_and_b32 s17, s33, s47
	s_delay_alu instid0(SALU_CYCLE_1) | instskip(SKIP_1) | instid1(VALU_DEP_2)
	v_cndmask_b32_e64 v2, 0, 0x8000, s17
	s_and_b32 s17, s31, s48
	v_or3_b32 v55, v1, v0, v56
	v_cndmask_b32_e64 v3, 0, 0x4000, s17
	s_cmp_lg_u32 s44, 0
	s_delay_alu instid0(VALU_DEP_1) | instskip(NEXT) | instid1(VALU_DEP_1)
	v_or3_b32 v54, v3, v2, v55
	v_bcnt_u32_b32 v8, v54, 0
	s_cbranch_scc0 .LBB27_193
; %bb.132:
	v_mbcnt_lo_u32_b32 v60, -1, 0
	s_delay_alu instid0(VALU_DEP_2)
	v_mov_b32_dpp v6, v8 row_shr:1 row_mask:0xf bank_mask:0xf
	v_mov_b32_dpp v5, v9 row_shr:1 row_mask:0xf bank_mask:0xf
	v_mov_b32_e32 v2, v9
	v_dual_mov_b32 v0, v8 :: v_dual_mov_b32 v1, v9
	v_dual_mov_b32 v3, v8 :: v_dual_and_b32 v4, 15, v60
	s_mov_b32 s17, exec_lo
	s_delay_alu instid0(VALU_DEP_1)
	v_cmpx_ne_u32_e32 0, v4
; %bb.133:
	v_add_co_u32 v3, s21, v6, v8
	s_delay_alu instid0(VALU_DEP_1) | instskip(NEXT) | instid1(VALU_DEP_2)
	v_add_co_ci_u32_e64 v0, null, 0, 0, s21
	v_add_co_u32 v1, vcc_lo, 0, v3
	s_delay_alu instid0(VALU_DEP_2) | instskip(NEXT) | instid1(VALU_DEP_2)
	v_add_co_ci_u32_e32 v2, vcc_lo, v5, v0, vcc_lo
	v_mov_b32_e32 v0, v1
	s_delay_alu instid0(VALU_DEP_2)
	v_mov_b32_e32 v1, v2
; %bb.134:
	s_or_b32 exec_lo, exec_lo, s17
	v_mov_b32_dpp v6, v3 row_shr:2 row_mask:0xf bank_mask:0xf
	v_mov_b32_dpp v5, v2 row_shr:2 row_mask:0xf bank_mask:0xf
	s_mov_b32 s17, exec_lo
	v_cmpx_lt_u32_e32 1, v4
; %bb.135:
	s_delay_alu instid0(VALU_DEP_3) | instskip(SKIP_1) | instid1(VALU_DEP_2)
	v_add_co_u32 v3, vcc_lo, v0, v6
	v_add_co_ci_u32_e32 v0, vcc_lo, 0, v1, vcc_lo
	v_add_co_u32 v1, vcc_lo, 0, v3
	s_delay_alu instid0(VALU_DEP_2) | instskip(NEXT) | instid1(VALU_DEP_2)
	v_add_co_ci_u32_e32 v2, vcc_lo, v5, v0, vcc_lo
	v_mov_b32_e32 v0, v1
	s_delay_alu instid0(VALU_DEP_2)
	v_mov_b32_e32 v1, v2
; %bb.136:
	s_or_b32 exec_lo, exec_lo, s17
	v_mov_b32_dpp v6, v3 row_shr:4 row_mask:0xf bank_mask:0xf
	v_mov_b32_dpp v5, v2 row_shr:4 row_mask:0xf bank_mask:0xf
	s_mov_b32 s17, exec_lo
	v_cmpx_lt_u32_e32 3, v4
; %bb.137:
	s_delay_alu instid0(VALU_DEP_3) | instskip(SKIP_1) | instid1(VALU_DEP_2)
	v_add_co_u32 v3, vcc_lo, v0, v6
	v_add_co_ci_u32_e32 v0, vcc_lo, 0, v1, vcc_lo
	;; [unrolled: 16-line block ×3, first 2 shown]
	v_add_co_u32 v0, vcc_lo, 0, v3
	s_delay_alu instid0(VALU_DEP_2) | instskip(NEXT) | instid1(VALU_DEP_1)
	v_add_co_ci_u32_e32 v1, vcc_lo, v5, v1, vcc_lo
	v_mov_b32_e32 v2, v1
; %bb.140:
	s_or_b32 exec_lo, exec_lo, s17
	ds_swizzle_b32 v4, v3 offset:swizzle(BROADCAST,32,15)
	ds_swizzle_b32 v2, v2 offset:swizzle(BROADCAST,32,15)
	v_and_b32_e32 v5, 16, v60
	s_mov_b32 s17, exec_lo
	s_delay_alu instid0(VALU_DEP_1)
	v_cmpx_ne_u32_e32 0, v5
	s_cbranch_execz .LBB27_142
; %bb.141:
	s_waitcnt lgkmcnt(1)
	v_add_co_u32 v3, vcc_lo, v0, v4
	v_add_co_ci_u32_e32 v1, vcc_lo, 0, v1, vcc_lo
	s_delay_alu instid0(VALU_DEP_2) | instskip(SKIP_1) | instid1(VALU_DEP_2)
	v_add_co_u32 v0, vcc_lo, 0, v3
	s_waitcnt lgkmcnt(0)
	v_add_co_ci_u32_e32 v1, vcc_lo, v2, v1, vcc_lo
.LBB27_142:
	s_or_b32 exec_lo, exec_lo, s17
	s_waitcnt lgkmcnt(0)
	v_and_b32_e32 v2, 0x3e0, v16
	v_lshrrev_b32_e32 v4, 5, v16
	s_delay_alu instid0(VALU_DEP_2) | instskip(NEXT) | instid1(VALU_DEP_1)
	v_min_u32_e32 v2, 0xe0, v2
	v_or_b32_e32 v2, 31, v2
	s_delay_alu instid0(VALU_DEP_1) | instskip(NEXT) | instid1(VALU_DEP_4)
	v_cmp_eq_u32_e32 vcc_lo, v2, v16
	v_lshlrev_b32_e32 v2, 3, v4
	s_and_saveexec_b32 s17, vcc_lo
	s_cbranch_execz .LBB27_144
; %bb.143:
	ds_store_b64 v2, v[0:1] offset:18432
.LBB27_144:
	s_or_b32 exec_lo, exec_lo, s17
	s_delay_alu instid0(SALU_CYCLE_1)
	s_mov_b32 s17, exec_lo
	s_waitcnt lgkmcnt(0)
	s_barrier
	buffer_gl0_inv
	v_cmpx_gt_u32_e32 8, v16
	s_cbranch_execz .LBB27_152
; %bb.145:
	v_lshlrev_b32_e32 v5, 3, v16
	v_and_b32_e32 v4, 7, v60
	s_mov_b32 s21, exec_lo
	ds_load_b64 v[0:1], v5 offset:18432
	s_waitcnt lgkmcnt(0)
	v_mov_b32_e32 v6, v0
	v_mov_b32_dpp v10, v0 row_shr:1 row_mask:0xf bank_mask:0xf
	v_mov_b32_dpp v7, v1 row_shr:1 row_mask:0xf bank_mask:0xf
	v_cmpx_ne_u32_e32 0, v4
; %bb.146:
	s_delay_alu instid0(VALU_DEP_3) | instskip(SKIP_1) | instid1(VALU_DEP_2)
	v_add_co_u32 v6, vcc_lo, v0, v10
	v_add_co_ci_u32_e32 v1, vcc_lo, 0, v1, vcc_lo
	v_add_co_u32 v0, vcc_lo, 0, v6
	s_delay_alu instid0(VALU_DEP_2)
	v_add_co_ci_u32_e32 v1, vcc_lo, v7, v1, vcc_lo
; %bb.147:
	s_or_b32 exec_lo, exec_lo, s21
	v_mov_b32_dpp v10, v6 row_shr:2 row_mask:0xf bank_mask:0xf
	s_delay_alu instid0(VALU_DEP_2)
	v_mov_b32_dpp v7, v1 row_shr:2 row_mask:0xf bank_mask:0xf
	s_mov_b32 s21, exec_lo
	v_cmpx_lt_u32_e32 1, v4
; %bb.148:
	s_delay_alu instid0(VALU_DEP_3) | instskip(SKIP_1) | instid1(VALU_DEP_2)
	v_add_co_u32 v6, vcc_lo, v0, v10
	v_add_co_ci_u32_e32 v1, vcc_lo, 0, v1, vcc_lo
	v_add_co_u32 v0, vcc_lo, 0, v6
	s_delay_alu instid0(VALU_DEP_2)
	v_add_co_ci_u32_e32 v1, vcc_lo, v7, v1, vcc_lo
; %bb.149:
	s_or_b32 exec_lo, exec_lo, s21
	v_add_nc_u32_e32 v5, 0x4800, v5
	v_mov_b32_dpp v7, v6 row_shr:4 row_mask:0xf bank_mask:0xf
	s_delay_alu instid0(VALU_DEP_3)
	v_mov_b32_dpp v6, v1 row_shr:4 row_mask:0xf bank_mask:0xf
	s_mov_b32 s21, exec_lo
	v_cmpx_lt_u32_e32 3, v4
; %bb.150:
	s_delay_alu instid0(VALU_DEP_3) | instskip(SKIP_1) | instid1(VALU_DEP_2)
	v_add_co_u32 v0, vcc_lo, v0, v7
	v_add_co_ci_u32_e32 v1, vcc_lo, 0, v1, vcc_lo
	v_add_co_u32 v0, vcc_lo, v0, 0
	s_delay_alu instid0(VALU_DEP_2)
	v_add_co_ci_u32_e32 v1, vcc_lo, v1, v6, vcc_lo
; %bb.151:
	s_or_b32 exec_lo, exec_lo, s21
	ds_store_b64 v5, v[0:1]
.LBB27_152:
	s_or_b32 exec_lo, exec_lo, s17
	v_cmp_gt_u32_e32 vcc_lo, 32, v16
	s_mov_b32 s21, exec_lo
	s_waitcnt lgkmcnt(0)
	s_barrier
	buffer_gl0_inv
                                        ; implicit-def: $vgpr10_vgpr11
	v_cmpx_lt_u32_e32 31, v16
	s_cbranch_execz .LBB27_154
; %bb.153:
	ds_load_b64 v[10:11], v2 offset:18424
	s_waitcnt lgkmcnt(0)
	v_add_nc_u32_e32 v3, v3, v10
.LBB27_154:
	s_or_b32 exec_lo, exec_lo, s21
	v_add_nc_u32_e32 v0, -1, v60
	s_delay_alu instid0(VALU_DEP_1) | instskip(NEXT) | instid1(VALU_DEP_1)
	v_cmp_gt_i32_e64 s17, 0, v0
	v_cndmask_b32_e64 v0, v0, v60, s17
	v_cmp_eq_u32_e64 s17, 0, v60
	s_delay_alu instid0(VALU_DEP_2)
	v_lshlrev_b32_e32 v0, 2, v0
	ds_bpermute_b32 v61, v0, v3
	s_and_saveexec_b32 s21, vcc_lo
	s_cbranch_execz .LBB27_192
; %bb.155:
	v_mov_b32_e32 v3, 0
	ds_load_b64 v[0:1], v3 offset:18488
	s_and_saveexec_b32 s22, s17
	s_cbranch_execz .LBB27_157
; %bb.156:
	s_add_i32 s24, s44, 32
	s_mov_b32 s25, 0
	s_delay_alu instid0(SALU_CYCLE_1) | instskip(NEXT) | instid1(SALU_CYCLE_1)
	s_lshl_b64 s[24:25], s[24:25], 4
	s_add_u32 s24, s40, s24
	s_addc_u32 s25, s41, s25
	v_mov_b32_e32 v4, s24
	v_dual_mov_b32 v2, 1 :: v_dual_mov_b32 v5, s25
	s_waitcnt lgkmcnt(0)
	;;#ASMSTART
	global_store_dwordx4 v[4:5], v[0:3] off	
s_waitcnt vmcnt(0)
	;;#ASMEND
.LBB27_157:
	s_or_b32 exec_lo, exec_lo, s22
	v_xad_u32 v11, v60, -1, s44
	s_mov_b32 s23, 0
	s_mov_b32 s22, exec_lo
	s_delay_alu instid0(VALU_DEP_1) | instskip(NEXT) | instid1(VALU_DEP_1)
	v_add_nc_u32_e32 v2, 32, v11
	v_lshlrev_b64 v[2:3], 4, v[2:3]
	s_delay_alu instid0(VALU_DEP_1) | instskip(NEXT) | instid1(VALU_DEP_2)
	v_add_co_u32 v2, vcc_lo, s40, v2
	v_add_co_ci_u32_e32 v3, vcc_lo, s41, v3, vcc_lo
	;;#ASMSTART
	global_load_dwordx4 v[4:7], v[2:3] off glc	
s_waitcnt vmcnt(0)
	;;#ASMEND
	v_and_b32_e32 v7, 0xff, v5
	v_and_b32_e32 v12, 0xff00, v5
	;; [unrolled: 1-line block ×3, first 2 shown]
	v_or3_b32 v4, v4, 0, 0
	v_and_b32_e32 v5, 0xff000000, v5
	s_delay_alu instid0(VALU_DEP_4) | instskip(SKIP_1) | instid1(VALU_DEP_4)
	v_or3_b32 v7, 0, v7, v12
	v_and_b32_e32 v12, 0xff, v6
	v_or3_b32 v4, v4, 0, 0
	s_delay_alu instid0(VALU_DEP_3) | instskip(NEXT) | instid1(VALU_DEP_3)
	v_or3_b32 v5, v7, v13, v5
	v_cmpx_eq_u16_e32 0, v12
	s_cbranch_execz .LBB27_160
.LBB27_158:                             ; =>This Inner Loop Header: Depth=1
	;;#ASMSTART
	global_load_dwordx4 v[4:7], v[2:3] off glc	
s_waitcnt vmcnt(0)
	;;#ASMEND
	v_and_b32_e32 v7, 0xff, v6
	s_delay_alu instid0(VALU_DEP_1) | instskip(SKIP_1) | instid1(SALU_CYCLE_1)
	v_cmp_ne_u16_e32 vcc_lo, 0, v7
	s_or_b32 s23, vcc_lo, s23
	s_and_not1_b32 exec_lo, exec_lo, s23
	s_cbranch_execnz .LBB27_158
; %bb.159:
	s_or_b32 exec_lo, exec_lo, s23
.LBB27_160:
	s_delay_alu instid0(SALU_CYCLE_1)
	s_or_b32 exec_lo, exec_lo, s22
	v_cmp_ne_u32_e32 vcc_lo, 31, v60
	v_and_b32_e32 v3, 0xff, v6
	v_lshlrev_b32_e64 v63, v60, -1
	s_mov_b32 s22, exec_lo
	v_add_co_ci_u32_e32 v2, vcc_lo, 0, v60, vcc_lo
	s_delay_alu instid0(VALU_DEP_3) | instskip(NEXT) | instid1(VALU_DEP_2)
	v_cmp_eq_u16_e32 vcc_lo, 2, v3
	v_dual_mov_b32 v3, v4 :: v_dual_lshlrev_b32 v62, 2, v2
	v_and_or_b32 v2, vcc_lo, v63, 0x80000000
	ds_bpermute_b32 v12, v62, v4
	ds_bpermute_b32 v7, v62, v5
	v_ctz_i32_b32_e32 v2, v2
	s_delay_alu instid0(VALU_DEP_1)
	v_cmpx_lt_u32_e64 v60, v2
	s_cbranch_execz .LBB27_162
; %bb.161:
	s_waitcnt lgkmcnt(1)
	v_add_co_u32 v3, vcc_lo, v4, v12
	v_add_co_ci_u32_e32 v5, vcc_lo, 0, v5, vcc_lo
	s_delay_alu instid0(VALU_DEP_2) | instskip(SKIP_1) | instid1(VALU_DEP_2)
	v_add_co_u32 v4, vcc_lo, 0, v3
	s_waitcnt lgkmcnt(0)
	v_add_co_ci_u32_e32 v5, vcc_lo, v7, v5, vcc_lo
.LBB27_162:
	s_or_b32 exec_lo, exec_lo, s22
	v_cmp_gt_u32_e32 vcc_lo, 30, v60
	v_add_nc_u32_e32 v65, 2, v60
	s_mov_b32 s22, exec_lo
	s_waitcnt lgkmcnt(0)
	v_cndmask_b32_e64 v7, 0, 1, vcc_lo
	s_delay_alu instid0(VALU_DEP_1) | instskip(NEXT) | instid1(VALU_DEP_1)
	v_lshlrev_b32_e32 v7, 1, v7
	v_add_lshl_u32 v64, v7, v60, 2
	ds_bpermute_b32 v12, v64, v3
	ds_bpermute_b32 v7, v64, v5
	v_cmpx_le_u32_e64 v65, v2
	s_cbranch_execz .LBB27_164
; %bb.163:
	s_waitcnt lgkmcnt(1)
	v_add_co_u32 v3, vcc_lo, v4, v12
	v_add_co_ci_u32_e32 v5, vcc_lo, 0, v5, vcc_lo
	s_delay_alu instid0(VALU_DEP_2) | instskip(SKIP_1) | instid1(VALU_DEP_2)
	v_add_co_u32 v4, vcc_lo, 0, v3
	s_waitcnt lgkmcnt(0)
	v_add_co_ci_u32_e32 v5, vcc_lo, v7, v5, vcc_lo
.LBB27_164:
	s_or_b32 exec_lo, exec_lo, s22
	v_cmp_gt_u32_e32 vcc_lo, 28, v60
	v_add_nc_u32_e32 v67, 4, v60
	s_mov_b32 s22, exec_lo
	s_waitcnt lgkmcnt(0)
	v_cndmask_b32_e64 v7, 0, 1, vcc_lo
	s_delay_alu instid0(VALU_DEP_1) | instskip(NEXT) | instid1(VALU_DEP_1)
	v_lshlrev_b32_e32 v7, 2, v7
	v_add_lshl_u32 v66, v7, v60, 2
	ds_bpermute_b32 v12, v66, v3
	ds_bpermute_b32 v7, v66, v5
	v_cmpx_le_u32_e64 v67, v2
	;; [unrolled: 22-line block ×4, first 2 shown]
	s_cbranch_execz .LBB27_170
; %bb.169:
	s_waitcnt lgkmcnt(1)
	v_add_co_u32 v2, vcc_lo, v4, v7
	v_add_co_ci_u32_e32 v5, vcc_lo, 0, v5, vcc_lo
	s_delay_alu instid0(VALU_DEP_2) | instskip(SKIP_1) | instid1(VALU_DEP_2)
	v_add_co_u32 v4, vcc_lo, v2, 0
	s_waitcnt lgkmcnt(0)
	v_add_co_ci_u32_e32 v5, vcc_lo, v5, v3, vcc_lo
.LBB27_170:
	s_or_b32 exec_lo, exec_lo, s22
	v_mov_b32_e32 v12, 0
	s_branch .LBB27_172
.LBB27_171:                             ;   in Loop: Header=BB27_172 Depth=1
	s_or_b32 exec_lo, exec_lo, s22
	v_add_co_u32 v4, vcc_lo, v4, v2
	v_subrev_nc_u32_e32 v11, 32, v11
	v_add_co_ci_u32_e32 v5, vcc_lo, v5, v3, vcc_lo
.LBB27_172:                             ; =>This Loop Header: Depth=1
                                        ;     Child Loop BB27_175 Depth 2
	v_and_b32_e32 v2, 0xff, v6
	s_delay_alu instid0(VALU_DEP_1) | instskip(SKIP_2) | instid1(VALU_DEP_1)
	v_cmp_ne_u16_e32 vcc_lo, 2, v2
	v_cndmask_b32_e64 v2, 0, 1, vcc_lo
	;;#ASMSTART
	;;#ASMEND
	v_cmp_ne_u32_e32 vcc_lo, 0, v2
	s_waitcnt lgkmcnt(0)
	v_dual_mov_b32 v2, v4 :: v_dual_mov_b32 v3, v5
	s_cmp_lg_u32 vcc_lo, exec_lo
	s_cbranch_scc1 .LBB27_187
; %bb.173:                              ;   in Loop: Header=BB27_172 Depth=1
	v_lshlrev_b64 v[4:5], 4, v[11:12]
	s_mov_b32 s22, exec_lo
	s_delay_alu instid0(VALU_DEP_1) | instskip(NEXT) | instid1(VALU_DEP_2)
	v_add_co_u32 v13, vcc_lo, s40, v4
	v_add_co_ci_u32_e32 v14, vcc_lo, s41, v5, vcc_lo
	;;#ASMSTART
	global_load_dwordx4 v[4:7], v[13:14] off glc	
s_waitcnt vmcnt(0)
	;;#ASMEND
	v_and_b32_e32 v7, 0xff, v5
	v_and_b32_e32 v72, 0xff00, v5
	;; [unrolled: 1-line block ×3, first 2 shown]
	v_or3_b32 v4, v4, 0, 0
	v_and_b32_e32 v5, 0xff000000, v5
	s_delay_alu instid0(VALU_DEP_4) | instskip(SKIP_1) | instid1(VALU_DEP_4)
	v_or3_b32 v7, 0, v7, v72
	v_and_b32_e32 v72, 0xff, v6
	v_or3_b32 v4, v4, 0, 0
	s_delay_alu instid0(VALU_DEP_3) | instskip(NEXT) | instid1(VALU_DEP_3)
	v_or3_b32 v5, v7, v73, v5
	v_cmpx_eq_u16_e32 0, v72
	s_cbranch_execz .LBB27_177
; %bb.174:                              ;   in Loop: Header=BB27_172 Depth=1
	s_mov_b32 s23, 0
.LBB27_175:                             ;   Parent Loop BB27_172 Depth=1
                                        ; =>  This Inner Loop Header: Depth=2
	;;#ASMSTART
	global_load_dwordx4 v[4:7], v[13:14] off glc	
s_waitcnt vmcnt(0)
	;;#ASMEND
	v_and_b32_e32 v7, 0xff, v6
	s_delay_alu instid0(VALU_DEP_1) | instskip(SKIP_1) | instid1(SALU_CYCLE_1)
	v_cmp_ne_u16_e32 vcc_lo, 0, v7
	s_or_b32 s23, vcc_lo, s23
	s_and_not1_b32 exec_lo, exec_lo, s23
	s_cbranch_execnz .LBB27_175
; %bb.176:                              ;   in Loop: Header=BB27_172 Depth=1
	s_or_b32 exec_lo, exec_lo, s23
.LBB27_177:                             ;   in Loop: Header=BB27_172 Depth=1
	s_delay_alu instid0(SALU_CYCLE_1)
	s_or_b32 exec_lo, exec_lo, s22
	v_and_b32_e32 v7, 0xff, v6
	ds_bpermute_b32 v72, v62, v4
	ds_bpermute_b32 v14, v62, v5
	v_mov_b32_e32 v13, v4
	s_mov_b32 s22, exec_lo
	v_cmp_eq_u16_e32 vcc_lo, 2, v7
	v_and_or_b32 v7, vcc_lo, v63, 0x80000000
	s_delay_alu instid0(VALU_DEP_1) | instskip(NEXT) | instid1(VALU_DEP_1)
	v_ctz_i32_b32_e32 v7, v7
	v_cmpx_lt_u32_e64 v60, v7
	s_cbranch_execz .LBB27_179
; %bb.178:                              ;   in Loop: Header=BB27_172 Depth=1
	s_waitcnt lgkmcnt(1)
	v_add_co_u32 v13, vcc_lo, v4, v72
	v_add_co_ci_u32_e32 v5, vcc_lo, 0, v5, vcc_lo
	s_delay_alu instid0(VALU_DEP_2) | instskip(SKIP_1) | instid1(VALU_DEP_2)
	v_add_co_u32 v4, vcc_lo, 0, v13
	s_waitcnt lgkmcnt(0)
	v_add_co_ci_u32_e32 v5, vcc_lo, v14, v5, vcc_lo
.LBB27_179:                             ;   in Loop: Header=BB27_172 Depth=1
	s_or_b32 exec_lo, exec_lo, s22
	s_waitcnt lgkmcnt(1)
	ds_bpermute_b32 v72, v64, v13
	s_waitcnt lgkmcnt(1)
	ds_bpermute_b32 v14, v64, v5
	s_mov_b32 s22, exec_lo
	v_cmpx_le_u32_e64 v65, v7
	s_cbranch_execz .LBB27_181
; %bb.180:                              ;   in Loop: Header=BB27_172 Depth=1
	s_waitcnt lgkmcnt(1)
	v_add_co_u32 v13, vcc_lo, v4, v72
	v_add_co_ci_u32_e32 v5, vcc_lo, 0, v5, vcc_lo
	s_delay_alu instid0(VALU_DEP_2) | instskip(SKIP_1) | instid1(VALU_DEP_2)
	v_add_co_u32 v4, vcc_lo, 0, v13
	s_waitcnt lgkmcnt(0)
	v_add_co_ci_u32_e32 v5, vcc_lo, v14, v5, vcc_lo
.LBB27_181:                             ;   in Loop: Header=BB27_172 Depth=1
	s_or_b32 exec_lo, exec_lo, s22
	s_waitcnt lgkmcnt(1)
	ds_bpermute_b32 v72, v66, v13
	s_waitcnt lgkmcnt(1)
	ds_bpermute_b32 v14, v66, v5
	s_mov_b32 s22, exec_lo
	v_cmpx_le_u32_e64 v67, v7
	;; [unrolled: 17-line block ×3, first 2 shown]
	s_cbranch_execz .LBB27_185
; %bb.184:                              ;   in Loop: Header=BB27_172 Depth=1
	s_waitcnt lgkmcnt(1)
	v_add_co_u32 v13, vcc_lo, v4, v72
	v_add_co_ci_u32_e32 v5, vcc_lo, 0, v5, vcc_lo
	s_delay_alu instid0(VALU_DEP_2) | instskip(SKIP_1) | instid1(VALU_DEP_2)
	v_add_co_u32 v4, vcc_lo, 0, v13
	s_waitcnt lgkmcnt(0)
	v_add_co_ci_u32_e32 v5, vcc_lo, v14, v5, vcc_lo
.LBB27_185:                             ;   in Loop: Header=BB27_172 Depth=1
	s_or_b32 exec_lo, exec_lo, s22
	s_waitcnt lgkmcnt(0)
	ds_bpermute_b32 v14, v70, v13
	ds_bpermute_b32 v13, v70, v5
	s_mov_b32 s22, exec_lo
	v_cmpx_le_u32_e64 v71, v7
	s_cbranch_execz .LBB27_171
; %bb.186:                              ;   in Loop: Header=BB27_172 Depth=1
	s_waitcnt lgkmcnt(1)
	v_add_co_u32 v4, vcc_lo, v4, v14
	v_add_co_ci_u32_e32 v5, vcc_lo, 0, v5, vcc_lo
	s_delay_alu instid0(VALU_DEP_2) | instskip(SKIP_1) | instid1(VALU_DEP_2)
	v_add_co_u32 v4, vcc_lo, v4, 0
	s_waitcnt lgkmcnt(0)
	v_add_co_ci_u32_e32 v5, vcc_lo, v5, v13, vcc_lo
	s_branch .LBB27_171
.LBB27_187:                             ;   in Loop: Header=BB27_172 Depth=1
                                        ; implicit-def: $vgpr4_vgpr5
	s_cbranch_execz .LBB27_172
; %bb.188:
	s_and_saveexec_b32 s22, s17
	s_cbranch_execz .LBB27_190
; %bb.189:
	s_add_i32 s24, s44, 32
	s_mov_b32 s25, 0
	v_add_co_u32 v4, vcc_lo, v2, v0
	s_lshl_b64 s[24:25], s[24:25], 4
	v_dual_mov_b32 v6, 2 :: v_dual_mov_b32 v7, 0
	s_add_u32 s24, s40, s24
	s_addc_u32 s25, s41, s25
	v_add_co_ci_u32_e32 v5, vcc_lo, v3, v1, vcc_lo
	v_dual_mov_b32 v11, s24 :: v_dual_mov_b32 v12, s25
	;;#ASMSTART
	global_store_dwordx4 v[11:12], v[4:7] off	
s_waitcnt vmcnt(0)
	;;#ASMEND
	ds_store_b128 v7, v[0:3] offset:18496
.LBB27_190:
	s_or_b32 exec_lo, exec_lo, s22
	s_delay_alu instid0(SALU_CYCLE_1)
	s_and_b32 exec_lo, exec_lo, s0
	s_cbranch_execz .LBB27_192
; %bb.191:
	v_mov_b32_e32 v0, 0
	ds_store_b64 v0, v[2:3] offset:18488
.LBB27_192:
	s_or_b32 exec_lo, exec_lo, s21
	v_mov_b32_e32 v0, 0
	s_waitcnt lgkmcnt(0)
	s_barrier
	buffer_gl0_inv
	ds_load_b64 v[2:3], v0 offset:18488
	s_waitcnt lgkmcnt(0)
	s_barrier
	buffer_gl0_inv
	ds_load_b64 v[0:1], v0 offset:18504
	v_cndmask_b32_e64 v3, v61, v10, s17
	s_movk_i32 s17, 0x4840
	s_delay_alu instid0(VALU_DEP_1) | instskip(NEXT) | instid1(VALU_DEP_1)
	v_cndmask_b32_e64 v3, v3, 0, s0
	v_add_co_u32 v4, vcc_lo, v2, v3
	s_branch .LBB27_217
.LBB27_193:
                                        ; implicit-def: $vgpr0_vgpr1
                                        ; implicit-def: $sgpr17
                                        ; implicit-def: $vgpr4_vgpr5
	s_cbranch_execz .LBB27_217
; %bb.194:
	v_mbcnt_lo_u32_b32 v4, -1, 0
	v_mov_b32_e32 v2, 0
	v_mov_b32_dpp v6, v8 row_shr:1 row_mask:0xf bank_mask:0xf
	s_waitcnt lgkmcnt(0)
	v_dual_mov_b32 v0, v8 :: v_dual_mov_b32 v1, v9
	v_and_b32_e32 v3, 15, v4
	v_mov_b32_dpp v5, v2 row_shr:1 row_mask:0xf bank_mask:0xf
	s_mov_b32 s17, exec_lo
	s_delay_alu instid0(VALU_DEP_2)
	v_cmpx_ne_u32_e32 0, v3
; %bb.195:
	v_add_co_u32 v8, s21, v6, v8
	s_delay_alu instid0(VALU_DEP_1) | instskip(NEXT) | instid1(VALU_DEP_2)
	v_add_co_ci_u32_e64 v0, null, 0, 0, s21
	v_add_co_u32 v1, vcc_lo, 0, v8
	s_delay_alu instid0(VALU_DEP_2) | instskip(NEXT) | instid1(VALU_DEP_2)
	v_add_co_ci_u32_e32 v2, vcc_lo, v5, v0, vcc_lo
	v_mov_b32_e32 v0, v1
	s_delay_alu instid0(VALU_DEP_2)
	v_mov_b32_e32 v1, v2
; %bb.196:
	s_or_b32 exec_lo, exec_lo, s17
	v_mov_b32_dpp v6, v8 row_shr:2 row_mask:0xf bank_mask:0xf
	v_mov_b32_dpp v5, v2 row_shr:2 row_mask:0xf bank_mask:0xf
	s_mov_b32 s17, exec_lo
	v_cmpx_lt_u32_e32 1, v3
; %bb.197:
	s_delay_alu instid0(VALU_DEP_3) | instskip(SKIP_1) | instid1(VALU_DEP_2)
	v_add_co_u32 v8, vcc_lo, v0, v6
	v_add_co_ci_u32_e32 v0, vcc_lo, 0, v1, vcc_lo
	v_add_co_u32 v1, vcc_lo, 0, v8
	s_delay_alu instid0(VALU_DEP_2) | instskip(NEXT) | instid1(VALU_DEP_2)
	v_add_co_ci_u32_e32 v2, vcc_lo, v5, v0, vcc_lo
	v_mov_b32_e32 v0, v1
	s_delay_alu instid0(VALU_DEP_2)
	v_mov_b32_e32 v1, v2
; %bb.198:
	s_or_b32 exec_lo, exec_lo, s17
	v_mov_b32_dpp v6, v8 row_shr:4 row_mask:0xf bank_mask:0xf
	v_mov_b32_dpp v5, v2 row_shr:4 row_mask:0xf bank_mask:0xf
	s_mov_b32 s17, exec_lo
	v_cmpx_lt_u32_e32 3, v3
; %bb.199:
	s_delay_alu instid0(VALU_DEP_3) | instskip(SKIP_1) | instid1(VALU_DEP_2)
	v_add_co_u32 v8, vcc_lo, v0, v6
	v_add_co_ci_u32_e32 v0, vcc_lo, 0, v1, vcc_lo
	;; [unrolled: 16-line block ×3, first 2 shown]
	v_add_co_u32 v0, vcc_lo, 0, v8
	s_delay_alu instid0(VALU_DEP_2) | instskip(NEXT) | instid1(VALU_DEP_1)
	v_add_co_ci_u32_e32 v1, vcc_lo, v5, v1, vcc_lo
	v_mov_b32_e32 v2, v1
; %bb.202:
	s_or_b32 exec_lo, exec_lo, s17
	ds_swizzle_b32 v3, v8 offset:swizzle(BROADCAST,32,15)
	ds_swizzle_b32 v2, v2 offset:swizzle(BROADCAST,32,15)
	v_and_b32_e32 v5, 16, v4
	s_mov_b32 s17, exec_lo
	s_delay_alu instid0(VALU_DEP_1)
	v_cmpx_ne_u32_e32 0, v5
	s_cbranch_execz .LBB27_204
; %bb.203:
	s_waitcnt lgkmcnt(1)
	v_add_co_u32 v8, vcc_lo, v0, v3
	v_add_co_ci_u32_e32 v1, vcc_lo, 0, v1, vcc_lo
	s_delay_alu instid0(VALU_DEP_2) | instskip(SKIP_1) | instid1(VALU_DEP_2)
	v_add_co_u32 v0, vcc_lo, 0, v8
	s_waitcnt lgkmcnt(0)
	v_add_co_ci_u32_e32 v1, vcc_lo, v2, v1, vcc_lo
.LBB27_204:
	s_or_b32 exec_lo, exec_lo, s17
	s_waitcnt lgkmcnt(0)
	v_and_b32_e32 v2, 0x3e0, v16
	v_lshrrev_b32_e32 v3, 5, v16
	s_mov_b32 s17, exec_lo
	s_delay_alu instid0(VALU_DEP_2) | instskip(NEXT) | instid1(VALU_DEP_2)
	v_min_u32_e32 v2, 0xe0, v2
	v_lshlrev_b32_e32 v5, 3, v3
	s_delay_alu instid0(VALU_DEP_2) | instskip(NEXT) | instid1(VALU_DEP_1)
	v_or_b32_e32 v2, 31, v2
	v_cmpx_eq_u32_e64 v2, v16
	s_cbranch_execz .LBB27_206
; %bb.205:
	ds_store_b64 v5, v[0:1] offset:18432
.LBB27_206:
	s_or_b32 exec_lo, exec_lo, s17
	s_delay_alu instid0(SALU_CYCLE_1)
	s_mov_b32 s17, exec_lo
	s_waitcnt lgkmcnt(0)
	s_barrier
	buffer_gl0_inv
	v_cmpx_gt_u32_e32 8, v16
	s_cbranch_execz .LBB27_214
; %bb.207:
	v_lshlrev_b32_e32 v3, 3, v16
	v_and_b32_e32 v2, 7, v4
	s_mov_b32 s21, exec_lo
	ds_load_b64 v[0:1], v3 offset:18432
	s_waitcnt lgkmcnt(0)
	v_mov_b32_e32 v6, v0
	v_mov_b32_dpp v9, v0 row_shr:1 row_mask:0xf bank_mask:0xf
	v_mov_b32_dpp v7, v1 row_shr:1 row_mask:0xf bank_mask:0xf
	v_cmpx_ne_u32_e32 0, v2
; %bb.208:
	s_delay_alu instid0(VALU_DEP_3) | instskip(SKIP_1) | instid1(VALU_DEP_2)
	v_add_co_u32 v6, vcc_lo, v0, v9
	v_add_co_ci_u32_e32 v1, vcc_lo, 0, v1, vcc_lo
	v_add_co_u32 v0, vcc_lo, 0, v6
	s_delay_alu instid0(VALU_DEP_2)
	v_add_co_ci_u32_e32 v1, vcc_lo, v7, v1, vcc_lo
; %bb.209:
	s_or_b32 exec_lo, exec_lo, s21
	v_mov_b32_dpp v9, v6 row_shr:2 row_mask:0xf bank_mask:0xf
	s_delay_alu instid0(VALU_DEP_2)
	v_mov_b32_dpp v7, v1 row_shr:2 row_mask:0xf bank_mask:0xf
	s_mov_b32 s21, exec_lo
	v_cmpx_lt_u32_e32 1, v2
; %bb.210:
	s_delay_alu instid0(VALU_DEP_3) | instskip(SKIP_1) | instid1(VALU_DEP_2)
	v_add_co_u32 v6, vcc_lo, v0, v9
	v_add_co_ci_u32_e32 v1, vcc_lo, 0, v1, vcc_lo
	v_add_co_u32 v0, vcc_lo, 0, v6
	s_delay_alu instid0(VALU_DEP_2)
	v_add_co_ci_u32_e32 v1, vcc_lo, v7, v1, vcc_lo
; %bb.211:
	s_or_b32 exec_lo, exec_lo, s21
	v_add_nc_u32_e32 v3, 0x4800, v3
	v_mov_b32_dpp v7, v6 row_shr:4 row_mask:0xf bank_mask:0xf
	s_delay_alu instid0(VALU_DEP_3)
	v_mov_b32_dpp v6, v1 row_shr:4 row_mask:0xf bank_mask:0xf
	s_mov_b32 s21, exec_lo
	v_cmpx_lt_u32_e32 3, v2
; %bb.212:
	s_delay_alu instid0(VALU_DEP_3) | instskip(SKIP_1) | instid1(VALU_DEP_2)
	v_add_co_u32 v0, vcc_lo, v0, v7
	v_add_co_ci_u32_e32 v1, vcc_lo, 0, v1, vcc_lo
	v_add_co_u32 v0, vcc_lo, v0, 0
	s_delay_alu instid0(VALU_DEP_2)
	v_add_co_ci_u32_e32 v1, vcc_lo, v1, v6, vcc_lo
; %bb.213:
	s_or_b32 exec_lo, exec_lo, s21
	ds_store_b64 v3, v[0:1]
.LBB27_214:
	s_or_b32 exec_lo, exec_lo, s17
	v_mov_b32_e32 v0, 0
	v_mov_b32_e32 v1, 0
	s_mov_b32 s17, exec_lo
	s_waitcnt lgkmcnt(0)
	s_barrier
	buffer_gl0_inv
	v_dual_mov_b32 v3, v1 :: v_dual_mov_b32 v2, v0
	v_cmpx_lt_u32_e32 31, v16
	s_cbranch_execz .LBB27_216
; %bb.215:
	ds_load_b64 v[2:3], v5 offset:18424
.LBB27_216:
	s_or_b32 exec_lo, exec_lo, s17
	s_waitcnt lgkmcnt(0)
	v_add_nc_u32_e32 v3, -1, v4
	v_add_nc_u32_e32 v5, v8, v2
	s_movk_i32 s17, 0x4838
	s_delay_alu instid0(VALU_DEP_2) | instskip(SKIP_2) | instid1(VALU_DEP_2)
	v_cmp_gt_i32_e32 vcc_lo, 0, v3
	v_cndmask_b32_e32 v3, v3, v4, vcc_lo
	v_cmp_eq_u32_e32 vcc_lo, 0, v4
	v_lshlrev_b32_e32 v3, 2, v3
	ds_bpermute_b32 v3, v3, v5
	s_waitcnt lgkmcnt(0)
	v_cndmask_b32_e32 v4, v3, v2, vcc_lo
.LBB27_217:
	v_mov_b32_e32 v2, s17
	s_waitcnt lgkmcnt(0)
	s_delay_alu instid0(VALU_DEP_2)
	v_sub_nc_u32_e32 v4, v4, v0
	ds_load_b64 v[2:3], v2
	s_waitcnt lgkmcnt(0)
	s_barrier
	buffer_gl0_inv
	s_and_saveexec_b32 s17, s46
	s_cbranch_execnz .LBB27_263
; %bb.218:
	s_or_b32 exec_lo, exec_lo, s17
	s_and_saveexec_b32 s1, s45
	s_cbranch_execnz .LBB27_264
.LBB27_219:
	s_or_b32 exec_lo, exec_lo, s1
	s_and_saveexec_b32 s1, s36
	s_cbranch_execnz .LBB27_265
.LBB27_220:
	s_or_b32 exec_lo, exec_lo, s1
	s_and_saveexec_b32 s1, s20
	s_cbranch_execnz .LBB27_266
.LBB27_221:
	s_or_b32 exec_lo, exec_lo, s1
	s_and_saveexec_b32 s1, s19
	s_cbranch_execnz .LBB27_267
.LBB27_222:
	s_or_b32 exec_lo, exec_lo, s1
	s_and_saveexec_b32 s1, s18
	s_cbranch_execz .LBB27_224
.LBB27_223:
	v_cndmask_b32_e64 v5, v33, v32, s6
	v_lshlrev_b32_e32 v6, 2, v4
	v_add_nc_u32_e32 v4, 1, v4
	ds_store_b32 v6, v5 offset:19456
.LBB27_224:
	s_or_b32 exec_lo, exec_lo, s1
	v_and_b32_e32 v5, 64, v59
	s_mov_b32 s1, exec_lo
	s_delay_alu instid0(VALU_DEP_1)
	v_cmpx_ne_u32_e32 0, v5
	s_cbranch_execz .LBB27_226
; %bb.225:
	v_cndmask_b32_e64 v5, v35, v34, s7
	v_lshlrev_b32_e32 v6, 2, v4
	v_add_nc_u32_e32 v4, 1, v4
	ds_store_b32 v6, v5 offset:19456
.LBB27_226:
	s_or_b32 exec_lo, exec_lo, s1
	v_and_b32_e32 v5, 0x80, v58
	s_mov_b32 s1, exec_lo
	s_delay_alu instid0(VALU_DEP_1)
	v_cmpx_ne_u32_e32 0, v5
	s_cbranch_execz .LBB27_228
; %bb.227:
	v_cndmask_b32_e64 v5, v37, v36, s8
	v_lshlrev_b32_e32 v6, 2, v4
	v_add_nc_u32_e32 v4, 1, v4
	ds_store_b32 v6, v5 offset:19456
.LBB27_228:
	;; [unrolled: 12-line block ×9, first 2 shown]
	s_or_b32 exec_lo, exec_lo, s1
	v_and_b32_e32 v5, 0x8000, v54
	s_mov_b32 s1, exec_lo
	s_delay_alu instid0(VALU_DEP_1)
	v_cmpx_ne_u32_e32 0, v5
	s_cbranch_execz .LBB27_244
; %bb.243:
	v_cndmask_b32_e64 v5, v53, v52, s16
	v_lshlrev_b32_e32 v4, 2, v4
	ds_store_b32 v4, v5 offset:19456
.LBB27_244:
	s_or_b32 exec_lo, exec_lo, s1
	s_delay_alu instid0(SALU_CYCLE_1)
	s_mov_b32 s2, exec_lo
	s_waitcnt lgkmcnt(0)
	s_barrier
	buffer_gl0_inv
	v_cmpx_lt_i32_e64 v16, v2
	s_cbranch_execz .LBB27_247
; %bb.245:
	v_lshlrev_b64 v[4:5], 2, v[0:1]
	v_dual_mov_b32 v7, v16 :: v_dual_add_nc_u32 v6, 0x4c00, v22
	s_mov_b32 s3, 0
	s_delay_alu instid0(VALU_DEP_2) | instskip(NEXT) | instid1(VALU_DEP_3)
	v_add_co_u32 v4, vcc_lo, s42, v4
	v_add_co_ci_u32_e32 v5, vcc_lo, s43, v5, vcc_lo
	s_delay_alu instid0(VALU_DEP_2) | instskip(NEXT) | instid1(VALU_DEP_2)
	v_add_co_u32 v4, vcc_lo, v4, v22
	v_add_co_ci_u32_e32 v5, vcc_lo, 0, v5, vcc_lo
	.p2align	6
.LBB27_246:                             ; =>This Inner Loop Header: Depth=1
	ds_load_b32 v8, v6
	v_add_nc_u32_e32 v7, 0x100, v7
	v_add_nc_u32_e32 v6, 0x400, v6
	s_delay_alu instid0(VALU_DEP_2) | instskip(SKIP_4) | instid1(VALU_DEP_1)
	v_cmp_ge_i32_e32 vcc_lo, v7, v2
	s_or_b32 s3, vcc_lo, s3
	s_waitcnt lgkmcnt(0)
	global_store_b32 v[4:5], v8, off
	v_add_co_u32 v4, s1, 0x400, v4
	v_add_co_ci_u32_e64 v5, s1, 0, v5, s1
	s_and_not1_b32 exec_lo, exec_lo, s3
	s_cbranch_execnz .LBB27_246
.LBB27_247:
	s_or_b32 exec_lo, exec_lo, s2
	s_and_saveexec_b32 s1, s0
	s_cbranch_execz .LBB27_249
; %bb.248:
	v_add_co_u32 v0, vcc_lo, v2, v0
	v_mov_b32_e32 v4, 0
	v_add_co_ci_u32_e32 v1, vcc_lo, v3, v1, vcc_lo
	global_store_b64 v4, v[0:1], s[38:39]
.LBB27_249:
	s_or_b32 exec_lo, exec_lo, s1
	s_mov_b32 s0, 0
.LBB27_250:
	s_delay_alu instid0(SALU_CYCLE_1)
	s_and_b32 vcc_lo, exec_lo, s0
	s_cbranch_vccz .LBB27_470
; %bb.251:
	s_ashr_i32 s0, s37, 31
	v_sub_co_u32 v3, s1, v16, s37
	s_delay_alu instid0(VALU_DEP_1) | instskip(SKIP_3) | instid1(VALU_DEP_4)
	v_sub_co_ci_u32_e64 v4, null, 0, s0, s1
	v_subrev_nc_u32_e32 v0, s37, v16
	v_add_nc_u32_e32 v8, 0x200, v16
	v_or_b32_e32 v13, 0x400, v16
	v_lshlrev_b64 v[3:4], 2, v[3:4]
	v_add_nc_u32_e32 v10, 0x300, v16
	v_ashrrev_i32_e32 v1, 31, v0
	v_add_nc_u32_e32 v14, 0x500, v16
	v_subrev_nc_u32_e32 v9, s37, v13
	v_add_nc_u32_e32 v24, 0x600, v16
	v_add_co_u32 v11, s0, v18, v3
	s_delay_alu instid0(VALU_DEP_1) | instskip(SKIP_3) | instid1(VALU_DEP_3)
	v_add_co_ci_u32_e64 v12, s0, v19, v4, s0
	v_lshlrev_b32_e32 v2, 2, v16
	v_lshlrev_b64 v[5:6], 2, v[0:1]
	v_add_nc_u32_e32 v31, 0xe00, v16
	v_add_co_u32 v0, vcc_lo, v20, v2
	v_add_co_ci_u32_e32 v1, vcc_lo, 0, v21, vcc_lo
	s_delay_alu instid0(VALU_DEP_4) | instskip(SKIP_2) | instid1(VALU_DEP_2)
	v_add_co_u32 v5, vcc_lo, v18, v5
	v_add_co_ci_u32_e32 v6, vcc_lo, v19, v6, vcc_lo
	v_cmp_gt_i32_e32 vcc_lo, s37, v16
	v_dual_cndmask_b32 v4, v6, v1 :: v_dual_add_nc_u32 v7, 0x100, v16
	s_delay_alu instid0(VALU_DEP_4) | instskip(SKIP_1) | instid1(VALU_DEP_3)
	v_cndmask_b32_e32 v3, v5, v0, vcc_lo
	v_cmp_gt_i32_e32 vcc_lo, s37, v8
	v_cmp_gt_i32_e64 s0, s37, v7
	v_dual_cndmask_b32 v8, v12, v1 :: v_dual_cndmask_b32 v7, v11, v0
	v_cmp_gt_i32_e32 vcc_lo, s37, v10
	v_ashrrev_i32_e32 v10, 31, v9
	s_delay_alu instid0(VALU_DEP_4)
	v_cndmask_b32_e64 v6, v12, v1, s0
	v_cndmask_b32_e64 v5, v11, v0, s0
	global_load_b32 v3, v[3:4], off
	global_load_b32 v4, v[5:6], off offset:1024
	global_load_b32 v5, v[7:8], off offset:2048
	v_cndmask_b32_e32 v7, v12, v1, vcc_lo
	v_lshlrev_b32_e32 v12, 2, v13
	v_lshlrev_b64 v[8:9], 2, v[9:10]
	v_subrev_nc_u32_e32 v10, s37, v14
	v_cndmask_b32_e32 v6, v11, v0, vcc_lo
	s_delay_alu instid0(VALU_DEP_4) | instskip(NEXT) | instid1(VALU_DEP_3)
	v_add_co_u32 v15, vcc_lo, v20, v12
	v_ashrrev_i32_e32 v11, 31, v10
	v_add_co_ci_u32_e32 v12, vcc_lo, 0, v21, vcc_lo
	v_add_co_u32 v22, vcc_lo, v18, v8
	v_add_co_ci_u32_e32 v23, vcc_lo, v19, v9, vcc_lo
	s_delay_alu instid0(VALU_DEP_4) | instskip(SKIP_3) | instid1(VALU_DEP_4)
	v_lshlrev_b64 v[8:9], 2, v[10:11]
	v_add_co_u32 v10, s0, 0x1400, v0
	v_cmp_gt_i32_e32 vcc_lo, s37, v13
	v_add_co_ci_u32_e64 v13, s0, 0, v1, s0
	v_add_co_u32 v8, s0, v18, v8
	s_delay_alu instid0(VALU_DEP_1) | instskip(SKIP_3) | instid1(VALU_DEP_3)
	v_add_co_ci_u32_e64 v25, s0, v19, v9, s0
	v_cmp_gt_i32_e64 s0, s37, v14
	v_subrev_nc_u32_e32 v9, s37, v24
	v_dual_cndmask_b32 v12, v23, v12 :: v_dual_cndmask_b32 v11, v22, v15
	v_cndmask_b32_e64 v14, v25, v13, s0
	v_cndmask_b32_e64 v13, v8, v10, s0
	s_delay_alu instid0(VALU_DEP_4)
	v_ashrrev_i32_e32 v10, 31, v9
	global_load_b32 v6, v[6:7], off offset:3072
	global_load_b32 v7, v[11:12], off
	global_load_b32 v8, v[13:14], off
	v_add_co_u32 v13, vcc_lo, 0x1800, v0
	v_lshlrev_b64 v[9:10], 2, v[9:10]
	v_add_co_ci_u32_e32 v14, vcc_lo, 0, v1, vcc_lo
	v_or_b32_e32 v25, 0x800, v16
	s_delay_alu instid0(VALU_DEP_3) | instskip(NEXT) | instid1(VALU_DEP_4)
	v_add_co_u32 v22, vcc_lo, v18, v9
	v_add_co_ci_u32_e32 v23, vcc_lo, v19, v10, vcc_lo
	v_cmp_gt_i32_e32 vcc_lo, s37, v24
	v_add_nc_u32_e32 v15, 0x700, v16
	s_delay_alu instid0(VALU_DEP_1) | instskip(NEXT) | instid1(VALU_DEP_1)
	v_subrev_nc_u32_e32 v11, s37, v15
	v_ashrrev_i32_e32 v12, 31, v11
	s_delay_alu instid0(VALU_DEP_1) | instskip(SKIP_1) | instid1(VALU_DEP_1)
	v_lshlrev_b64 v[9:10], 2, v[11:12]
	v_add_co_u32 v12, s0, 0x1c00, v0
	v_add_co_ci_u32_e64 v24, s0, 0, v1, s0
	v_subrev_nc_u32_e32 v11, s37, v25
	s_delay_alu instid0(VALU_DEP_4) | instskip(NEXT) | instid1(VALU_DEP_1)
	v_add_co_u32 v26, s0, v18, v9
	v_add_co_ci_u32_e64 v27, s0, v19, v10, s0
	v_cndmask_b32_e32 v10, v23, v14, vcc_lo
	v_cmp_gt_i32_e64 s0, s37, v15
	v_cndmask_b32_e32 v9, v22, v13, vcc_lo
	v_lshlrev_b32_e32 v22, 2, v25
	s_delay_alu instid0(VALU_DEP_3) | instskip(SKIP_1) | instid1(VALU_DEP_3)
	v_cndmask_b32_e64 v13, v26, v12, s0
	v_ashrrev_i32_e32 v12, 31, v11
	v_add_co_u32 v22, vcc_lo, v20, v22
	v_add_co_ci_u32_e32 v23, vcc_lo, 0, v21, vcc_lo
	s_delay_alu instid0(VALU_DEP_3)
	v_lshlrev_b64 v[11:12], 2, v[11:12]
	v_cndmask_b32_e64 v14, v27, v24, s0
	global_load_b32 v9, v[9:10], off
	v_add_nc_u32_e32 v27, 0xa00, v16
	v_add_co_u32 v24, vcc_lo, v18, v11
	v_add_co_ci_u32_e32 v26, vcc_lo, v19, v12, vcc_lo
	v_cmp_gt_i32_e32 vcc_lo, s37, v25
	v_add_nc_u32_e32 v15, 0x900, v16
	global_load_b32 v10, v[13:14], off
	v_add_co_u32 v25, s0, 0x2400, v0
	s_delay_alu instid0(VALU_DEP_1) | instskip(SKIP_1) | instid1(VALU_DEP_1)
	v_add_co_ci_u32_e64 v28, s0, 0, v1, s0
	v_subrev_nc_u32_e32 v13, s37, v15
	v_ashrrev_i32_e32 v14, 31, v13
	s_delay_alu instid0(VALU_DEP_1) | instskip(SKIP_1) | instid1(VALU_DEP_1)
	v_lshlrev_b64 v[11:12], 2, v[13:14]
	v_subrev_nc_u32_e32 v13, s37, v27
	v_ashrrev_i32_e32 v14, 31, v13
	s_delay_alu instid0(VALU_DEP_3) | instskip(NEXT) | instid1(VALU_DEP_1)
	v_add_co_u32 v29, s0, v18, v11
	v_add_co_ci_u32_e64 v30, s0, v19, v12, s0
	v_cndmask_b32_e32 v12, v26, v23, vcc_lo
	v_cmp_gt_i32_e64 s0, s37, v15
	v_add_nc_u32_e32 v15, 0xb00, v16
	v_lshlrev_b64 v[13:14], 2, v[13:14]
	v_cndmask_b32_e32 v11, v24, v22, vcc_lo
	v_add_co_u32 v26, vcc_lo, 0x2800, v0
	s_delay_alu instid0(VALU_DEP_4)
	v_subrev_nc_u32_e32 v24, s37, v15
	v_cndmask_b32_e64 v23, v30, v28, s0
	v_add_co_ci_u32_e32 v28, vcc_lo, 0, v1, vcc_lo
	v_add_co_u32 v13, vcc_lo, v18, v13
	v_add_co_ci_u32_e32 v14, vcc_lo, v19, v14, vcc_lo
	v_cndmask_b32_e64 v22, v29, v25, s0
	v_ashrrev_i32_e32 v25, 31, v24
	v_cmp_gt_i32_e32 vcc_lo, s37, v27
	v_or_b32_e32 v27, 0xc00, v16
	global_load_b32 v11, v[11:12], off
	global_load_b32 v12, v[22:23], off
	v_lshlrev_b64 v[22:23], 2, v[24:25]
	v_cndmask_b32_e32 v14, v14, v28, vcc_lo
	v_subrev_nc_u32_e32 v24, s37, v27
	v_add_co_u32 v28, s0, 0x2c00, v0
	v_cndmask_b32_e32 v13, v13, v26, vcc_lo
	v_cmp_gt_i32_e32 vcc_lo, s37, v15
	s_delay_alu instid0(VALU_DEP_4)
	v_ashrrev_i32_e32 v25, 31, v24
	v_add_nc_u32_e32 v15, 0xd00, v16
	v_add_co_ci_u32_e64 v29, s0, 0, v1, s0
	v_add_co_u32 v30, s0, v18, v22
	v_lshlrev_b32_e32 v26, 2, v27
	v_add_co_ci_u32_e64 v22, s0, v19, v23, s0
	v_lshlrev_b64 v[23:24], 2, v[24:25]
	v_subrev_nc_u32_e32 v25, s37, v15
	s_delay_alu instid0(VALU_DEP_4) | instskip(NEXT) | instid1(VALU_DEP_4)
	v_add_co_u32 v20, s0, v20, v26
	v_cndmask_b32_e32 v22, v22, v29, vcc_lo
	v_add_co_ci_u32_e64 v29, s0, 0, v21, s0
	s_delay_alu instid0(VALU_DEP_4) | instskip(SKIP_1) | instid1(VALU_DEP_1)
	v_ashrrev_i32_e32 v26, 31, v25
	v_add_co_u32 v23, s0, v18, v23
	v_add_co_ci_u32_e64 v24, s0, v19, v24, s0
	v_cndmask_b32_e32 v21, v30, v28, vcc_lo
	v_cmp_gt_i32_e32 vcc_lo, s37, v27
	v_subrev_nc_u32_e32 v27, s37, v31
	v_lshlrev_b64 v[25:26], 2, v[25:26]
	v_dual_cndmask_b32 v23, v23, v20 :: v_dual_cndmask_b32 v24, v24, v29
	v_add_co_u32 v29, s0, 0x3400, v0
	s_delay_alu instid0(VALU_DEP_4) | instskip(SKIP_2) | instid1(VALU_DEP_1)
	v_ashrrev_i32_e32 v28, 31, v27
	v_add_co_ci_u32_e64 v30, s0, 0, v1, s0
	v_add_co_u32 v32, s0, v18, v25
	v_add_co_ci_u32_e64 v33, s0, v19, v26, s0
	s_delay_alu instid0(VALU_DEP_4) | instskip(SKIP_2) | instid1(VALU_DEP_1)
	v_lshlrev_b64 v[25:26], 2, v[27:28]
	v_cmp_gt_i32_e64 s0, s37, v15
	v_add_co_u32 v15, s1, 0x3800, v0
	v_add_co_ci_u32_e64 v27, s1, 0, v1, s1
	s_delay_alu instid0(VALU_DEP_4) | instskip(NEXT) | instid1(VALU_DEP_1)
	v_add_co_u32 v34, s1, v18, v25
	v_add_co_ci_u32_e64 v28, s1, v19, v26, s1
	v_cmp_gt_i32_e64 s1, s37, v31
	v_cndmask_b32_e64 v26, v33, v30, s0
	v_cndmask_b32_e64 v25, v32, v29, s0
	s_mov_b32 s0, exec_lo
	s_delay_alu instid0(VALU_DEP_3)
	v_cndmask_b32_e64 v28, v28, v27, s1
	v_cndmask_b32_e64 v27, v34, v15, s1
	global_load_b32 v13, v[13:14], off
	global_load_b32 v14, v[21:22], off
	;; [unrolled: 1-line block ×5, first 2 shown]
	v_add_nc_u32_e32 v24, 0xf00, v16
	v_add_nc_u32_e32 v22, s37, v17
                                        ; implicit-def: $vgpr23
	s_delay_alu instid0(VALU_DEP_1)
	v_cmpx_lt_i32_e64 v24, v22
	s_cbranch_execz .LBB27_253
; %bb.252:
	v_subrev_nc_u32_e32 v25, s37, v24
	v_add_co_u32 v0, vcc_lo, 0x3c00, v0
	v_add_co_ci_u32_e32 v1, vcc_lo, 0, v1, vcc_lo
	s_delay_alu instid0(VALU_DEP_3) | instskip(NEXT) | instid1(VALU_DEP_1)
	v_ashrrev_i32_e32 v26, 31, v25
	v_lshlrev_b64 v[25:26], 2, v[25:26]
	s_delay_alu instid0(VALU_DEP_1) | instskip(NEXT) | instid1(VALU_DEP_2)
	v_add_co_u32 v18, vcc_lo, v18, v25
	v_add_co_ci_u32_e32 v19, vcc_lo, v19, v26, vcc_lo
	v_cmp_gt_i32_e32 vcc_lo, s37, v24
	s_delay_alu instid0(VALU_DEP_2)
	v_dual_cndmask_b32 v1, v19, v1 :: v_dual_cndmask_b32 v0, v18, v0
	global_load_b32 v23, v[0:1], off
.LBB27_253:
	s_or_b32 exec_lo, exec_lo, s0
	v_lshlrev_b32_e32 v0, 4, v16
	s_waitcnt vmcnt(13)
	ds_store_2addr_stride64_b32 v2, v3, v4 offset0:4 offset1:8
	s_waitcnt vmcnt(11)
	ds_store_2addr_stride64_b32 v2, v5, v6 offset0:12 offset1:16
	;; [unrolled: 2-line block ×4, first 2 shown]
	s_lshl_b32 s1, s37, 2
	s_mov_b32 s0, exec_lo
	s_waitcnt vmcnt(5)
	ds_store_2addr_stride64_b32 v2, v11, v12 offset0:36 offset1:40
	s_waitcnt vmcnt(3)
	ds_store_2addr_stride64_b32 v2, v13, v14 offset0:44 offset1:48
	;; [unrolled: 2-line block ×4, first 2 shown]
	v_min_i32_e32 v1, v22, v0
	s_waitcnt lgkmcnt(0)
	s_waitcnt_vscnt null, 0x0
	s_barrier
	buffer_gl0_inv
	v_sub_nc_u32_e32 v0, v1, v17
	v_min_i32_e32 v3, s37, v1
	s_delay_alu instid0(VALU_DEP_2) | instskip(NEXT) | instid1(VALU_DEP_1)
	v_max_i32_e32 v0, 0, v0
	v_cmpx_lt_i32_e64 v0, v3
	s_cbranch_execz .LBB27_257
; %bb.254:
	v_lshlrev_b32_e32 v4, 2, v1
	s_mov_b32 s2, 0
	s_delay_alu instid0(VALU_DEP_1)
	v_add3_u32 v4, s1, v4, 0x400
	.p2align	6
.LBB27_255:                             ; =>This Inner Loop Header: Depth=1
	v_add_nc_u32_e32 v5, v3, v0
	s_delay_alu instid0(VALU_DEP_1) | instskip(NEXT) | instid1(VALU_DEP_1)
	v_ashrrev_i32_e32 v5, 1, v5
	v_not_b32_e32 v6, v5
	v_add_nc_u32_e32 v8, 1, v5
	v_lshlrev_b32_e32 v7, 2, v5
	s_delay_alu instid0(VALU_DEP_3)
	v_lshl_add_u32 v6, v6, 2, v4
	ds_load_b32 v7, v7 offset:1024
	ds_load_b32 v6, v6
	s_waitcnt lgkmcnt(0)
	v_cmp_lt_i32_e32 vcc_lo, v6, v7
	v_dual_cndmask_b32 v0, v8, v0 :: v_dual_cndmask_b32 v3, v3, v5
	s_delay_alu instid0(VALU_DEP_1) | instskip(SKIP_1) | instid1(SALU_CYCLE_1)
	v_cmp_ge_i32_e32 vcc_lo, v0, v3
	s_or_b32 s2, vcc_lo, s2
	s_and_not1_b32 exec_lo, exec_lo, s2
	s_cbranch_execnz .LBB27_255
; %bb.256:
	s_or_b32 exec_lo, exec_lo, s2
.LBB27_257:
	s_delay_alu instid0(SALU_CYCLE_1) | instskip(SKIP_3) | instid1(VALU_DEP_2)
	s_or_b32 exec_lo, exec_lo, s0
	v_sub_nc_u32_e32 v5, v1, v0
	v_mov_b32_e32 v4, 0
	s_mov_b32 s2, exec_lo
	v_cmpx_lt_i32_e64 v5, v17
	s_cbranch_execz .LBB27_292
; %bb.258:
	v_lshl_add_u32 v6, v5, 2, s1
	v_mov_b32_e32 v3, 0
	v_mov_b32_e32 v7, v0
	s_mov_b32 s0, exec_lo
	ds_load_b32 v4, v6 offset:1024
	v_cmpx_lt_i32_e32 0, v0
	s_cbranch_execnz .LBB27_268
; %bb.259:
	s_or_b32 exec_lo, exec_lo, s0
	s_delay_alu instid0(SALU_CYCLE_1)
	s_mov_b32 s0, exec_lo
	v_cmpx_lt_i32_e64 v3, v7
	s_cbranch_execnz .LBB27_269
.LBB27_260:
	s_or_b32 exec_lo, exec_lo, s0
	s_delay_alu instid0(SALU_CYCLE_1)
	s_mov_b32 s0, exec_lo
	v_cmpx_lt_i32_e64 v3, v7
	s_cbranch_execnz .LBB27_270
.LBB27_261:
	s_or_b32 exec_lo, exec_lo, s0
	s_delay_alu instid0(SALU_CYCLE_1)
	s_mov_b32 s0, exec_lo
	v_cmpx_lt_i32_e64 v3, v7
	s_cbranch_execnz .LBB27_271
.LBB27_262:
	s_or_b32 exec_lo, exec_lo, s0
	s_delay_alu instid0(SALU_CYCLE_1)
	s_mov_b32 s0, exec_lo
	v_cmpx_lt_i32_e64 v3, v7
	s_cbranch_execnz .LBB27_272
	s_branch .LBB27_275
.LBB27_263:
	v_add_nc_u32_e32 v5, 1, v4
	v_cndmask_b32_e64 v6, v23, v15, s1
	s_delay_alu instid0(VALU_DEP_2)
	v_dual_mov_b32 v4, v5 :: v_dual_lshlrev_b32 v7, 2, v4
	ds_store_b32 v7, v6 offset:19456
	s_or_b32 exec_lo, exec_lo, s17
	s_and_saveexec_b32 s1, s45
	s_cbranch_execz .LBB27_219
.LBB27_264:
	v_cndmask_b32_e64 v5, v25, v24, s2
	v_lshlrev_b32_e32 v6, 2, v4
	v_add_nc_u32_e32 v4, 1, v4
	ds_store_b32 v6, v5 offset:19456
	s_or_b32 exec_lo, exec_lo, s1
	s_and_saveexec_b32 s1, s36
	s_cbranch_execz .LBB27_220
.LBB27_265:
	v_cndmask_b32_e64 v5, v27, v26, s3
	v_lshlrev_b32_e32 v6, 2, v4
	v_add_nc_u32_e32 v4, 1, v4
	ds_store_b32 v6, v5 offset:19456
	s_or_b32 exec_lo, exec_lo, s1
	s_and_saveexec_b32 s1, s20
	s_cbranch_execz .LBB27_221
.LBB27_266:
	v_cndmask_b32_e64 v5, v29, v28, s4
	v_lshlrev_b32_e32 v6, 2, v4
	v_add_nc_u32_e32 v4, 1, v4
	ds_store_b32 v6, v5 offset:19456
	s_or_b32 exec_lo, exec_lo, s1
	s_and_saveexec_b32 s1, s19
	s_cbranch_execz .LBB27_222
.LBB27_267:
	v_cndmask_b32_e64 v5, v31, v30, s5
	v_lshlrev_b32_e32 v6, 2, v4
	v_add_nc_u32_e32 v4, 1, v4
	ds_store_b32 v6, v5 offset:19456
	s_or_b32 exec_lo, exec_lo, s1
	s_and_saveexec_b32 s1, s18
	s_cbranch_execnz .LBB27_223
	s_branch .LBB27_224
.LBB27_268:
	v_mul_lo_u32 v3, 0x1ff, v0
	s_delay_alu instid0(VALU_DEP_1) | instskip(NEXT) | instid1(VALU_DEP_1)
	v_ashrrev_i32_e32 v7, 9, v3
	v_lshlrev_b32_e32 v3, 2, v7
	ds_load_b32 v3, v3 offset:1024
	s_waitcnt lgkmcnt(0)
	v_cmp_lt_i32_e32 vcc_lo, v3, v4
	v_dual_cndmask_b32 v7, v7, v0 :: v_dual_add_nc_u32 v8, 1, v7
	s_delay_alu instid0(VALU_DEP_1) | instskip(SKIP_1) | instid1(SALU_CYCLE_1)
	v_cndmask_b32_e32 v3, 0, v8, vcc_lo
	s_or_b32 exec_lo, exec_lo, s0
	s_mov_b32 s0, exec_lo
	s_delay_alu instid0(VALU_DEP_1)
	v_cmpx_lt_i32_e64 v3, v7
	s_cbranch_execz .LBB27_260
.LBB27_269:
	v_sub_nc_u32_e32 v8, v3, v7
	s_delay_alu instid0(VALU_DEP_1) | instskip(NEXT) | instid1(VALU_DEP_1)
	v_lshl_add_u32 v8, v7, 7, v8
	v_ashrrev_i32_e32 v8, 7, v8
	s_delay_alu instid0(VALU_DEP_1) | instskip(SKIP_4) | instid1(VALU_DEP_1)
	v_lshlrev_b32_e32 v9, 2, v8
	ds_load_b32 v9, v9 offset:1024
	s_waitcnt lgkmcnt(0)
	v_cmp_lt_i32_e32 vcc_lo, v9, v4
	v_dual_cndmask_b32 v7, v8, v7 :: v_dual_add_nc_u32 v10, 1, v8
	v_cndmask_b32_e32 v3, v3, v10, vcc_lo
	s_or_b32 exec_lo, exec_lo, s0
	s_delay_alu instid0(SALU_CYCLE_1) | instskip(NEXT) | instid1(VALU_DEP_1)
	s_mov_b32 s0, exec_lo
	v_cmpx_lt_i32_e64 v3, v7
	s_cbranch_execz .LBB27_261
.LBB27_270:
	v_sub_nc_u32_e32 v8, v3, v7
	s_delay_alu instid0(VALU_DEP_1) | instskip(NEXT) | instid1(VALU_DEP_1)
	v_lshl_add_u32 v8, v7, 5, v8
	v_ashrrev_i32_e32 v8, 5, v8
	s_delay_alu instid0(VALU_DEP_1) | instskip(SKIP_4) | instid1(VALU_DEP_1)
	v_lshlrev_b32_e32 v9, 2, v8
	ds_load_b32 v9, v9 offset:1024
	s_waitcnt lgkmcnt(0)
	v_cmp_lt_i32_e32 vcc_lo, v9, v4
	v_dual_cndmask_b32 v7, v8, v7 :: v_dual_add_nc_u32 v10, 1, v8
	v_cndmask_b32_e32 v3, v3, v10, vcc_lo
	s_or_b32 exec_lo, exec_lo, s0
	s_delay_alu instid0(SALU_CYCLE_1) | instskip(NEXT) | instid1(VALU_DEP_1)
	s_mov_b32 s0, exec_lo
	v_cmpx_lt_i32_e64 v3, v7
	s_cbranch_execz .LBB27_262
.LBB27_271:
	v_sub_nc_u32_e32 v8, v3, v7
	s_delay_alu instid0(VALU_DEP_1) | instskip(NEXT) | instid1(VALU_DEP_1)
	v_lshl_add_u32 v8, v7, 4, v8
	v_ashrrev_i32_e32 v8, 4, v8
	s_delay_alu instid0(VALU_DEP_1) | instskip(SKIP_4) | instid1(VALU_DEP_1)
	v_lshlrev_b32_e32 v9, 2, v8
	ds_load_b32 v9, v9 offset:1024
	s_waitcnt lgkmcnt(0)
	v_cmp_lt_i32_e32 vcc_lo, v9, v4
	v_dual_cndmask_b32 v7, v8, v7 :: v_dual_add_nc_u32 v10, 1, v8
	v_cndmask_b32_e32 v3, v3, v10, vcc_lo
	s_or_b32 exec_lo, exec_lo, s0
	s_delay_alu instid0(SALU_CYCLE_1) | instskip(NEXT) | instid1(VALU_DEP_1)
	s_mov_b32 s0, exec_lo
	v_cmpx_lt_i32_e64 v3, v7
	s_cbranch_execz .LBB27_275
.LBB27_272:
	s_mov_b32 s3, 0
.LBB27_273:                             ; =>This Inner Loop Header: Depth=1
	v_sub_nc_u32_e32 v8, v3, v7
	s_delay_alu instid0(VALU_DEP_1) | instskip(NEXT) | instid1(VALU_DEP_1)
	v_lshl_add_u32 v8, v7, 1, v8
	v_ashrrev_i32_e32 v8, 1, v8
	s_delay_alu instid0(VALU_DEP_1) | instskip(SKIP_4) | instid1(VALU_DEP_1)
	v_lshlrev_b32_e32 v9, 2, v8
	ds_load_b32 v9, v9 offset:1024
	s_waitcnt lgkmcnt(0)
	v_cmp_lt_i32_e32 vcc_lo, v9, v4
	v_dual_cndmask_b32 v7, v8, v7 :: v_dual_add_nc_u32 v10, 1, v8
	v_cndmask_b32_e32 v3, v3, v10, vcc_lo
	s_delay_alu instid0(VALU_DEP_1) | instskip(SKIP_1) | instid1(SALU_CYCLE_1)
	v_cmp_ge_i32_e32 vcc_lo, v3, v7
	s_or_b32 s3, vcc_lo, s3
	s_and_not1_b32 exec_lo, exec_lo, s3
	s_cbranch_execnz .LBB27_273
; %bb.274:
	s_or_b32 exec_lo, exec_lo, s3
.LBB27_275:
	s_delay_alu instid0(SALU_CYCLE_1)
	s_or_b32 exec_lo, exec_lo, s0
	v_dual_mov_b32 v7, 0 :: v_dual_add_nc_u32 v6, 0x400, v6
	v_mov_b32_e32 v8, v5
	s_mov_b32 s0, exec_lo
	v_cmpx_lt_i32_e32 0, v5
	s_cbranch_execnz .LBB27_280
; %bb.276:
	s_or_b32 exec_lo, exec_lo, s0
	s_delay_alu instid0(SALU_CYCLE_1)
	s_mov_b32 s0, exec_lo
	v_cmpx_lt_i32_e64 v7, v8
	s_cbranch_execnz .LBB27_281
.LBB27_277:
	s_or_b32 exec_lo, exec_lo, s0
	s_delay_alu instid0(SALU_CYCLE_1)
	s_mov_b32 s0, exec_lo
	v_cmpx_lt_i32_e64 v7, v8
	s_cbranch_execnz .LBB27_282
.LBB27_278:
	s_or_b32 exec_lo, exec_lo, s0
	s_delay_alu instid0(SALU_CYCLE_1)
	s_mov_b32 s0, exec_lo
	v_cmpx_lt_i32_e64 v7, v8
	s_cbranch_execnz .LBB27_283
.LBB27_279:
	s_or_b32 exec_lo, exec_lo, s0
	s_delay_alu instid0(SALU_CYCLE_1)
	s_mov_b32 s0, exec_lo
	v_cmpx_lt_i32_e64 v7, v8
	s_cbranch_execnz .LBB27_284
	s_branch .LBB27_287
.LBB27_280:
	v_mul_lo_u32 v7, 0x1ff, v5
	s_delay_alu instid0(VALU_DEP_1) | instskip(NEXT) | instid1(VALU_DEP_1)
	v_ashrrev_i32_e32 v8, 9, v7
	v_lshl_add_u32 v7, v8, 2, s1
	ds_load_b32 v7, v7 offset:1024
	s_waitcnt lgkmcnt(0)
	v_cmp_lt_i32_e32 vcc_lo, v7, v4
	v_dual_cndmask_b32 v8, v8, v5 :: v_dual_add_nc_u32 v9, 1, v8
	s_delay_alu instid0(VALU_DEP_1) | instskip(SKIP_1) | instid1(SALU_CYCLE_1)
	v_cndmask_b32_e32 v7, 0, v9, vcc_lo
	s_or_b32 exec_lo, exec_lo, s0
	s_mov_b32 s0, exec_lo
	s_delay_alu instid0(VALU_DEP_1)
	v_cmpx_lt_i32_e64 v7, v8
	s_cbranch_execz .LBB27_277
.LBB27_281:
	v_sub_nc_u32_e32 v9, v7, v8
	s_delay_alu instid0(VALU_DEP_1) | instskip(NEXT) | instid1(VALU_DEP_1)
	v_lshl_add_u32 v9, v8, 7, v9
	v_ashrrev_i32_e32 v9, 7, v9
	s_delay_alu instid0(VALU_DEP_1) | instskip(SKIP_4) | instid1(VALU_DEP_1)
	v_lshl_add_u32 v10, v9, 2, s1
	ds_load_b32 v10, v10 offset:1024
	s_waitcnt lgkmcnt(0)
	v_cmp_lt_i32_e32 vcc_lo, v10, v4
	v_dual_cndmask_b32 v8, v9, v8 :: v_dual_add_nc_u32 v11, 1, v9
	v_cndmask_b32_e32 v7, v7, v11, vcc_lo
	s_or_b32 exec_lo, exec_lo, s0
	s_delay_alu instid0(SALU_CYCLE_1) | instskip(NEXT) | instid1(VALU_DEP_1)
	s_mov_b32 s0, exec_lo
	v_cmpx_lt_i32_e64 v7, v8
	s_cbranch_execz .LBB27_278
.LBB27_282:
	v_sub_nc_u32_e32 v9, v7, v8
	s_delay_alu instid0(VALU_DEP_1) | instskip(NEXT) | instid1(VALU_DEP_1)
	v_lshl_add_u32 v9, v8, 5, v9
	v_ashrrev_i32_e32 v9, 5, v9
	s_delay_alu instid0(VALU_DEP_1) | instskip(SKIP_4) | instid1(VALU_DEP_1)
	v_lshl_add_u32 v10, v9, 2, s1
	ds_load_b32 v10, v10 offset:1024
	s_waitcnt lgkmcnt(0)
	v_cmp_lt_i32_e32 vcc_lo, v10, v4
	v_dual_cndmask_b32 v8, v9, v8 :: v_dual_add_nc_u32 v11, 1, v9
	v_cndmask_b32_e32 v7, v7, v11, vcc_lo
	s_or_b32 exec_lo, exec_lo, s0
	s_delay_alu instid0(SALU_CYCLE_1) | instskip(NEXT) | instid1(VALU_DEP_1)
	s_mov_b32 s0, exec_lo
	v_cmpx_lt_i32_e64 v7, v8
	s_cbranch_execz .LBB27_279
.LBB27_283:
	v_sub_nc_u32_e32 v9, v7, v8
	s_delay_alu instid0(VALU_DEP_1) | instskip(NEXT) | instid1(VALU_DEP_1)
	v_lshl_add_u32 v9, v8, 4, v9
	v_ashrrev_i32_e32 v9, 4, v9
	s_delay_alu instid0(VALU_DEP_1) | instskip(SKIP_4) | instid1(VALU_DEP_1)
	v_lshl_add_u32 v10, v9, 2, s1
	ds_load_b32 v10, v10 offset:1024
	s_waitcnt lgkmcnt(0)
	v_cmp_lt_i32_e32 vcc_lo, v10, v4
	v_dual_cndmask_b32 v8, v9, v8 :: v_dual_add_nc_u32 v11, 1, v9
	v_cndmask_b32_e32 v7, v7, v11, vcc_lo
	s_or_b32 exec_lo, exec_lo, s0
	s_delay_alu instid0(SALU_CYCLE_1) | instskip(NEXT) | instid1(VALU_DEP_1)
	s_mov_b32 s0, exec_lo
	v_cmpx_lt_i32_e64 v7, v8
	s_cbranch_execz .LBB27_287
.LBB27_284:
	s_add_i32 s4, s1, 0x400
	s_mov_b32 s3, 0
.LBB27_285:                             ; =>This Inner Loop Header: Depth=1
	v_sub_nc_u32_e32 v9, v7, v8
	s_delay_alu instid0(VALU_DEP_1) | instskip(NEXT) | instid1(VALU_DEP_1)
	v_lshl_add_u32 v9, v8, 1, v9
	v_ashrrev_i32_e32 v9, 1, v9
	s_delay_alu instid0(VALU_DEP_1) | instskip(SKIP_4) | instid1(VALU_DEP_1)
	v_lshl_add_u32 v10, v9, 2, s4
	ds_load_b32 v10, v10
	s_waitcnt lgkmcnt(0)
	v_cmp_lt_i32_e32 vcc_lo, v10, v4
	v_dual_cndmask_b32 v8, v9, v8 :: v_dual_add_nc_u32 v11, 1, v9
	v_cndmask_b32_e32 v7, v7, v11, vcc_lo
	s_delay_alu instid0(VALU_DEP_1) | instskip(SKIP_1) | instid1(SALU_CYCLE_1)
	v_cmp_ge_i32_e32 vcc_lo, v7, v8
	s_or_b32 s3, vcc_lo, s3
	s_and_not1_b32 exec_lo, exec_lo, s3
	s_cbranch_execnz .LBB27_285
; %bb.286:
	s_or_b32 exec_lo, exec_lo, s3
.LBB27_287:
	s_delay_alu instid0(SALU_CYCLE_1) | instskip(SKIP_4) | instid1(VALU_DEP_1)
	s_or_b32 exec_lo, exec_lo, s0
	v_sub_nc_u32_e32 v0, v0, v3
	v_sub_nc_u32_e32 v9, v5, v7
	s_mov_b32 s3, 0
	s_mov_b32 s0, exec_lo
	v_add_nc_u32_e32 v8, v9, v0
	s_delay_alu instid0(VALU_DEP_1) | instskip(NEXT) | instid1(VALU_DEP_1)
	v_ashrrev_i32_e32 v0, 1, v8
	v_max_i32_e32 v0, v0, v9
	s_delay_alu instid0(VALU_DEP_1) | instskip(NEXT) | instid1(VALU_DEP_1)
	v_add3_u32 v7, v7, v0, 1
	v_min_i32_e32 v7, v7, v17
	s_delay_alu instid0(VALU_DEP_1) | instskip(SKIP_1) | instid1(VALU_DEP_2)
	v_sub_nc_u32_e32 v7, v7, v5
	v_mov_b32_e32 v5, 0
	v_cmpx_lt_i32_e32 0, v7
	s_cbranch_execz .LBB27_291
; %bb.288:
	v_mov_b32_e32 v5, 0
.LBB27_289:                             ; =>This Inner Loop Header: Depth=1
	s_delay_alu instid0(VALU_DEP_1) | instskip(NEXT) | instid1(VALU_DEP_1)
	v_add_nc_u32_e32 v10, v5, v7
	v_ashrrev_i32_e32 v10, 1, v10
	s_delay_alu instid0(VALU_DEP_1)
	v_lshl_add_u32 v11, v10, 2, v6
	v_add_nc_u32_e32 v12, 1, v10
	ds_load_b32 v11, v11
	s_waitcnt lgkmcnt(0)
	v_cmp_gt_i32_e32 vcc_lo, v11, v4
	v_cndmask_b32_e32 v5, v12, v5, vcc_lo
	v_cndmask_b32_e32 v7, v7, v10, vcc_lo
	s_delay_alu instid0(VALU_DEP_1) | instskip(SKIP_1) | instid1(SALU_CYCLE_1)
	v_cmp_ge_i32_e32 vcc_lo, v5, v7
	s_or_b32 s3, vcc_lo, s3
	s_and_not1_b32 exec_lo, exec_lo, s3
	s_cbranch_execnz .LBB27_289
; %bb.290:
	s_or_b32 exec_lo, exec_lo, s3
.LBB27_291:
	s_delay_alu instid0(SALU_CYCLE_1) | instskip(SKIP_2) | instid1(VALU_DEP_1)
	s_or_b32 exec_lo, exec_lo, s0
	s_waitcnt lgkmcnt(0)
	v_add_nc_u32_e32 v4, v5, v9
	v_min_i32_e32 v5, v4, v0
	v_cmp_lt_i32_e32 vcc_lo, v0, v4
	s_delay_alu instid0(VALU_DEP_2) | instskip(SKIP_1) | instid1(VALU_DEP_2)
	v_sub_nc_u32_e32 v6, v8, v5
	v_add_nc_u32_e32 v5, 1, v5
	v_add_nc_u32_e32 v0, v6, v3
	s_delay_alu instid0(VALU_DEP_2) | instskip(NEXT) | instid1(VALU_DEP_1)
	v_cmp_eq_u32_e64 s0, v6, v5
	s_and_b32 s0, vcc_lo, s0
	s_delay_alu instid0(SALU_CYCLE_1)
	v_cndmask_b32_e64 v4, 0, 1, s0
.LBB27_292:
	s_or_b32 exec_lo, exec_lo, s2
	s_delay_alu instid0(VALU_DEP_1)
	v_add_nc_u32_e32 v1, v4, v1
	s_lshl_b32 s0, s37, 16
	v_add_nc_u32_e32 v4, -1, v16
	v_or_b32_e32 v5, s0, v17
	v_cmp_eq_u32_e64 s0, 0, v16
	v_sub_nc_u32_e32 v3, v1, v0
	s_delay_alu instid0(VALU_DEP_2) | instskip(NEXT) | instid1(VALU_DEP_2)
	v_cndmask_b32_e64 v4, v4, 0xff, s0
	v_lshl_or_b32 v6, v0, 16, v3
	v_lshl_add_u32 v7, v3, 2, s1
	s_delay_alu instid0(VALU_DEP_3) | instskip(NEXT) | instid1(VALU_DEP_3)
	v_lshlrev_b32_e32 v4, 2, v4
	v_cndmask_b32_e64 v5, v6, v5, s0
	v_lshlrev_b32_e32 v6, 2, v0
	ds_store_b32 v4, v5
	s_waitcnt lgkmcnt(0)
	s_barrier
	buffer_gl0_inv
	ds_load_b32 v2, v2
	ds_load_b32 v15, v6 offset:1024
	ds_load_b32 v17, v7 offset:1024
	s_waitcnt lgkmcnt(2)
	v_ashrrev_i32_e32 v4, 16, v2
	s_waitcnt lgkmcnt(1)
	v_dual_mov_b32 v18, v15 :: v_dual_and_b32 v5, 0xffff, v2
	s_waitcnt lgkmcnt(0)
	v_cmp_lt_i32_e32 vcc_lo, v17, v15
	v_cmp_le_i32_e64 s3, v4, v0
	s_delay_alu instid0(VALU_DEP_3) | instskip(SKIP_1) | instid1(VALU_DEP_3)
	v_cmp_le_i32_e64 s1, v5, v3
	v_cndmask_b32_e64 v2, 0, 1, vcc_lo
	v_cndmask_b32_e64 v7, 0, 1, s3
	s_delay_alu instid0(VALU_DEP_3)
	s_or_b32 s2, s3, s1
	s_delay_alu instid0(VALU_DEP_1) | instid1(SALU_CYCLE_1)
	v_cndmask_b32_e64 v2, v2, v7, s2
	s_delay_alu instid0(VALU_DEP_1) | instskip(NEXT) | instid1(VALU_DEP_1)
	v_and_b32_e32 v2, 1, v2
	v_cmp_eq_u32_e32 vcc_lo, 1, v2
	s_xor_b32 s5, vcc_lo, -1
	s_delay_alu instid0(SALU_CYCLE_1)
	s_and_saveexec_b32 s4, s5
	s_cbranch_execz .LBB27_294
; %bb.293:
	ds_load_b32 v18, v6 offset:1028
	v_add_nc_u32_e32 v0, 1, v0
.LBB27_294:
	s_or_b32 exec_lo, exec_lo, s4
	s_xor_b32 s4, s3, -1
	v_cmp_lt_i32_e64 s3, v15, v17
	s_and_b32 s1, s1, s4
	v_mov_b32_e32 v19, v17
	v_cndmask_b32_e64 v6, 0, 1, s1
	s_delay_alu instid0(VALU_DEP_3) | instskip(NEXT) | instid1(VALU_DEP_1)
	v_cndmask_b32_e64 v2, 0, 1, s3
	v_cndmask_b32_e64 v2, v2, v6, s2
	s_delay_alu instid0(VALU_DEP_1) | instskip(NEXT) | instid1(VALU_DEP_1)
	v_and_b32_e32 v2, 1, v2
	v_cmp_eq_u32_e64 s1, 1, v2
	v_add_nc_u32_e32 v2, s37, v3
	s_delay_alu instid0(VALU_DEP_2) | instskip(NEXT) | instid1(SALU_CYCLE_1)
	s_xor_b32 s3, s1, -1
	s_and_saveexec_b32 s2, s3
	s_cbranch_execz .LBB27_296
; %bb.295:
	s_delay_alu instid0(VALU_DEP_1)
	v_lshlrev_b32_e32 v3, 2, v2
	v_add_nc_u32_e32 v2, 1, v2
	ds_load_b32 v19, v3 offset:1028
.LBB27_296:
	s_or_b32 exec_lo, exec_lo, s2
	s_waitcnt lgkmcnt(0)
	v_dual_mov_b32 v20, v18 :: v_dual_add_nc_u32 v7, s37, v5
	v_cmp_ge_i32_e64 s2, v0, v4
	v_cmp_lt_i32_e64 s4, v19, v18
	s_delay_alu instid0(VALU_DEP_3) | instskip(NEXT) | instid1(VALU_DEP_3)
	v_cmp_ge_i32_e64 s3, v2, v7
	v_cndmask_b32_e64 v3, 0, 1, s2
	s_delay_alu instid0(VALU_DEP_3) | instskip(NEXT) | instid1(VALU_DEP_3)
	v_cndmask_b32_e64 v5, 0, 1, s4
	s_or_b32 s4, s2, s3
	s_delay_alu instid0(VALU_DEP_1) | instid1(SALU_CYCLE_1)
	v_cndmask_b32_e64 v3, v5, v3, s4
	s_delay_alu instid0(VALU_DEP_1) | instskip(NEXT) | instid1(VALU_DEP_1)
	v_and_b32_e32 v3, 1, v3
	v_cmp_eq_u32_e64 s17, 1, v3
	v_mov_b32_e32 v3, v0
	s_delay_alu instid0(VALU_DEP_2) | instskip(NEXT) | instid1(SALU_CYCLE_1)
	s_xor_b32 s5, s17, -1
	s_and_saveexec_b32 s4, s5
	s_cbranch_execz .LBB27_298
; %bb.297:
	v_lshlrev_b32_e32 v3, 2, v0
	ds_load_b32 v20, v3 offset:1028
	v_add_nc_u32_e32 v3, 1, v0
.LBB27_298:
	s_or_b32 exec_lo, exec_lo, s4
	v_cmp_lt_i32_e64 s4, v18, v19
	s_xor_b32 s2, s2, -1
	v_mov_b32_e32 v21, v19
	v_mov_b32_e32 v5, v2
	s_delay_alu instid0(VALU_DEP_3) | instskip(NEXT) | instid1(SALU_CYCLE_1)
	s_or_b32 s3, s3, s4
	s_and_b32 s2, s2, s3
	s_delay_alu instid0(SALU_CYCLE_1) | instskip(NEXT) | instid1(SALU_CYCLE_1)
	s_xor_b32 s4, s2, -1
	s_and_saveexec_b32 s3, s4
	s_cbranch_execz .LBB27_300
; %bb.299:
	v_lshlrev_b32_e32 v5, 2, v2
	ds_load_b32 v21, v5 offset:1028
	v_add_nc_u32_e32 v5, 1, v2
.LBB27_300:
	s_or_b32 exec_lo, exec_lo, s3
	v_cmp_ge_i32_e64 s4, v3, v4
	s_waitcnt lgkmcnt(0)
	v_cmp_lt_i32_e64 s5, v21, v20
	v_cmp_ge_i32_e64 s3, v5, v7
	v_mov_b32_e32 v22, v20
	v_cndmask_b32_e64 v6, 0, 1, s4
	s_delay_alu instid0(VALU_DEP_4) | instskip(NEXT) | instid1(VALU_DEP_4)
	v_cndmask_b32_e64 v8, 0, 1, s5
	s_or_b32 s5, s4, s3
	s_delay_alu instid0(VALU_DEP_1) | instid1(SALU_CYCLE_1)
	v_cndmask_b32_e64 v6, v8, v6, s5
	s_delay_alu instid0(VALU_DEP_1) | instskip(NEXT) | instid1(VALU_DEP_1)
	v_and_b32_e32 v6, 1, v6
	v_cmp_eq_u32_e64 s18, 1, v6
	v_mov_b32_e32 v6, v3
	s_delay_alu instid0(VALU_DEP_2) | instskip(NEXT) | instid1(SALU_CYCLE_1)
	s_xor_b32 s6, s18, -1
	s_and_saveexec_b32 s5, s6
	s_cbranch_execz .LBB27_302
; %bb.301:
	v_lshlrev_b32_e32 v6, 2, v3
	ds_load_b32 v22, v6 offset:1028
	v_add_nc_u32_e32 v6, 1, v3
.LBB27_302:
	s_or_b32 exec_lo, exec_lo, s5
	v_cmp_lt_i32_e64 s5, v20, v21
	s_xor_b32 s4, s4, -1
	v_mov_b32_e32 v23, v21
	v_mov_b32_e32 v8, v5
	s_delay_alu instid0(VALU_DEP_3) | instskip(NEXT) | instid1(SALU_CYCLE_1)
	s_or_b32 s3, s3, s5
	s_and_b32 s3, s4, s3
	s_delay_alu instid0(SALU_CYCLE_1) | instskip(NEXT) | instid1(SALU_CYCLE_1)
	s_xor_b32 s5, s3, -1
	s_and_saveexec_b32 s4, s5
	s_cbranch_execz .LBB27_304
; %bb.303:
	v_lshlrev_b32_e32 v8, 2, v5
	ds_load_b32 v23, v8 offset:1028
	v_add_nc_u32_e32 v8, 1, v5
.LBB27_304:
	s_or_b32 exec_lo, exec_lo, s4
	v_cmp_ge_i32_e64 s5, v6, v4
	s_waitcnt lgkmcnt(0)
	v_cmp_lt_i32_e64 s6, v23, v22
	v_cmp_ge_i32_e64 s4, v8, v7
	v_mov_b32_e32 v24, v22
	v_cndmask_b32_e64 v9, 0, 1, s5
	s_delay_alu instid0(VALU_DEP_4) | instskip(NEXT) | instid1(VALU_DEP_4)
	v_cndmask_b32_e64 v10, 0, 1, s6
	s_or_b32 s6, s5, s4
	s_delay_alu instid0(VALU_DEP_1) | instid1(SALU_CYCLE_1)
	v_cndmask_b32_e64 v9, v10, v9, s6
	s_delay_alu instid0(VALU_DEP_1) | instskip(NEXT) | instid1(VALU_DEP_1)
	v_and_b32_e32 v9, 1, v9
	v_cmp_eq_u32_e64 s19, 1, v9
	v_mov_b32_e32 v9, v6
	s_delay_alu instid0(VALU_DEP_2) | instskip(NEXT) | instid1(SALU_CYCLE_1)
	s_xor_b32 s7, s19, -1
	s_and_saveexec_b32 s6, s7
	s_cbranch_execz .LBB27_306
; %bb.305:
	v_lshlrev_b32_e32 v9, 2, v6
	ds_load_b32 v24, v9 offset:1028
	v_add_nc_u32_e32 v9, 1, v6
.LBB27_306:
	s_or_b32 exec_lo, exec_lo, s6
	v_cmp_lt_i32_e64 s6, v22, v23
	s_xor_b32 s5, s5, -1
	v_dual_mov_b32 v25, v23 :: v_dual_mov_b32 v10, v8
	s_delay_alu instid0(VALU_DEP_2) | instskip(NEXT) | instid1(SALU_CYCLE_1)
	s_or_b32 s4, s4, s6
	s_and_b32 s4, s5, s4
	s_delay_alu instid0(SALU_CYCLE_1) | instskip(NEXT) | instid1(SALU_CYCLE_1)
	s_xor_b32 s6, s4, -1
	s_and_saveexec_b32 s5, s6
	s_cbranch_execz .LBB27_308
; %bb.307:
	v_lshlrev_b32_e32 v10, 2, v8
	ds_load_b32 v25, v10 offset:1028
	v_add_nc_u32_e32 v10, 1, v8
.LBB27_308:
	s_or_b32 exec_lo, exec_lo, s5
	v_cmp_ge_i32_e64 s6, v9, v4
	s_waitcnt lgkmcnt(0)
	v_cmp_lt_i32_e64 s7, v25, v24
	v_cmp_ge_i32_e64 s5, v10, v7
	v_mov_b32_e32 v26, v24
	v_cndmask_b32_e64 v11, 0, 1, s6
	s_delay_alu instid0(VALU_DEP_4) | instskip(NEXT) | instid1(VALU_DEP_4)
	v_cndmask_b32_e64 v12, 0, 1, s7
	s_or_b32 s7, s6, s5
	s_delay_alu instid0(VALU_DEP_1) | instid1(SALU_CYCLE_1)
	v_cndmask_b32_e64 v11, v12, v11, s7
	s_delay_alu instid0(VALU_DEP_1) | instskip(NEXT) | instid1(VALU_DEP_1)
	v_and_b32_e32 v11, 1, v11
	v_cmp_eq_u32_e64 s20, 1, v11
	v_mov_b32_e32 v11, v9
	s_delay_alu instid0(VALU_DEP_2) | instskip(NEXT) | instid1(SALU_CYCLE_1)
	s_xor_b32 s8, s20, -1
	s_and_saveexec_b32 s7, s8
	s_cbranch_execz .LBB27_310
; %bb.309:
	v_lshlrev_b32_e32 v11, 2, v9
	ds_load_b32 v26, v11 offset:1028
	v_add_nc_u32_e32 v11, 1, v9
.LBB27_310:
	s_or_b32 exec_lo, exec_lo, s7
	v_cmp_lt_i32_e64 s7, v24, v25
	s_xor_b32 s6, s6, -1
	v_dual_mov_b32 v27, v25 :: v_dual_mov_b32 v12, v10
	s_delay_alu instid0(VALU_DEP_2) | instskip(NEXT) | instid1(SALU_CYCLE_1)
	;; [unrolled: 41-line block ×3, first 2 shown]
	s_or_b32 s6, s6, s8
	s_and_b32 s6, s7, s6
	s_delay_alu instid0(SALU_CYCLE_1) | instskip(NEXT) | instid1(SALU_CYCLE_1)
	s_xor_b32 s8, s6, -1
	s_and_saveexec_b32 s7, s8
	s_cbranch_execz .LBB27_316
; %bb.315:
	v_lshlrev_b32_e32 v14, 2, v12
	ds_load_b32 v29, v14 offset:1028
	v_add_nc_u32_e32 v14, 1, v12
.LBB27_316:
	s_or_b32 exec_lo, exec_lo, s7
	v_cmp_ge_i32_e64 s8, v13, v4
	s_waitcnt lgkmcnt(0)
	v_cmp_lt_i32_e64 s9, v29, v28
	v_cmp_ge_i32_e64 s7, v14, v7
	v_mov_b32_e32 v48, v13
	v_cndmask_b32_e64 v30, 0, 1, s8
	s_delay_alu instid0(VALU_DEP_4) | instskip(NEXT) | instid1(VALU_DEP_4)
	v_cndmask_b32_e64 v31, 0, 1, s9
	s_or_b32 s9, s8, s7
	s_delay_alu instid0(VALU_DEP_1) | instid1(SALU_CYCLE_1)
	v_cndmask_b32_e64 v30, v31, v30, s9
	s_delay_alu instid0(VALU_DEP_1) | instskip(NEXT) | instid1(VALU_DEP_1)
	v_and_b32_e32 v30, 1, v30
	v_cmp_eq_u32_e64 s22, 1, v30
	v_mov_b32_e32 v30, v28
	s_delay_alu instid0(VALU_DEP_2) | instskip(NEXT) | instid1(SALU_CYCLE_1)
	s_xor_b32 s10, s22, -1
	s_and_saveexec_b32 s9, s10
	s_cbranch_execz .LBB27_318
; %bb.317:
	v_lshlrev_b32_e32 v30, 2, v13
	v_add_nc_u32_e32 v48, 1, v13
	ds_load_b32 v30, v30 offset:1028
.LBB27_318:
	s_or_b32 exec_lo, exec_lo, s9
	v_cmp_lt_i32_e64 s9, v28, v29
	s_xor_b32 s8, s8, -1
	v_mov_b32_e32 v31, v29
	v_mov_b32_e32 v49, v14
	s_delay_alu instid0(VALU_DEP_3) | instskip(NEXT) | instid1(SALU_CYCLE_1)
	s_or_b32 s7, s7, s9
	s_and_b32 s7, s8, s7
	s_delay_alu instid0(SALU_CYCLE_1) | instskip(NEXT) | instid1(SALU_CYCLE_1)
	s_xor_b32 s9, s7, -1
	s_and_saveexec_b32 s8, s9
	s_cbranch_execz .LBB27_320
; %bb.319:
	v_lshlrev_b32_e32 v31, 2, v14
	v_add_nc_u32_e32 v49, 1, v14
	ds_load_b32 v31, v31 offset:1028
.LBB27_320:
	s_or_b32 exec_lo, exec_lo, s8
	v_cmp_ge_i32_e64 s9, v48, v4
	s_waitcnt lgkmcnt(0)
	v_cmp_lt_i32_e64 s10, v31, v30
	v_cmp_ge_i32_e64 s8, v49, v7
	v_mov_b32_e32 v50, v48
	v_cndmask_b32_e64 v32, 0, 1, s9
	s_delay_alu instid0(VALU_DEP_4) | instskip(NEXT) | instid1(VALU_DEP_4)
	v_cndmask_b32_e64 v33, 0, 1, s10
	s_or_b32 s10, s9, s8
	s_delay_alu instid0(VALU_DEP_1) | instid1(SALU_CYCLE_1)
	v_cndmask_b32_e64 v32, v33, v32, s10
	s_delay_alu instid0(VALU_DEP_1) | instskip(NEXT) | instid1(VALU_DEP_1)
	v_and_b32_e32 v32, 1, v32
	v_cmp_eq_u32_e64 s23, 1, v32
	v_mov_b32_e32 v32, v30
	s_delay_alu instid0(VALU_DEP_2) | instskip(NEXT) | instid1(SALU_CYCLE_1)
	s_xor_b32 s11, s23, -1
	s_and_saveexec_b32 s10, s11
	s_cbranch_execz .LBB27_322
; %bb.321:
	v_lshlrev_b32_e32 v32, 2, v48
	v_add_nc_u32_e32 v50, 1, v48
	ds_load_b32 v32, v32 offset:1028
.LBB27_322:
	s_or_b32 exec_lo, exec_lo, s10
	v_cmp_lt_i32_e64 s10, v30, v31
	s_xor_b32 s9, s9, -1
	v_mov_b32_e32 v33, v31
	v_mov_b32_e32 v51, v49
	s_delay_alu instid0(VALU_DEP_3) | instskip(NEXT) | instid1(SALU_CYCLE_1)
	s_or_b32 s8, s8, s10
	s_and_b32 s8, s9, s8
	s_delay_alu instid0(SALU_CYCLE_1) | instskip(NEXT) | instid1(SALU_CYCLE_1)
	s_xor_b32 s10, s8, -1
	s_and_saveexec_b32 s9, s10
	s_cbranch_execz .LBB27_324
; %bb.323:
	v_lshlrev_b32_e32 v33, 2, v49
	v_add_nc_u32_e32 v51, 1, v49
	ds_load_b32 v33, v33 offset:1028
.LBB27_324:
	s_or_b32 exec_lo, exec_lo, s9
	v_cmp_ge_i32_e64 s10, v50, v4
	s_waitcnt lgkmcnt(0)
	v_cmp_lt_i32_e64 s11, v33, v32
	v_cmp_ge_i32_e64 s9, v51, v7
	v_mov_b32_e32 v52, v50
	v_cndmask_b32_e64 v34, 0, 1, s10
	s_delay_alu instid0(VALU_DEP_4) | instskip(NEXT) | instid1(VALU_DEP_4)
	v_cndmask_b32_e64 v35, 0, 1, s11
	s_or_b32 s11, s10, s9
	s_delay_alu instid0(VALU_DEP_1) | instid1(SALU_CYCLE_1)
	v_cndmask_b32_e64 v34, v35, v34, s11
	s_delay_alu instid0(VALU_DEP_1) | instskip(NEXT) | instid1(VALU_DEP_1)
	v_and_b32_e32 v34, 1, v34
	v_cmp_eq_u32_e64 s24, 1, v34
	v_mov_b32_e32 v34, v32
	s_delay_alu instid0(VALU_DEP_2) | instskip(NEXT) | instid1(SALU_CYCLE_1)
	s_xor_b32 s12, s24, -1
	s_and_saveexec_b32 s11, s12
	s_cbranch_execz .LBB27_326
; %bb.325:
	v_lshlrev_b32_e32 v34, 2, v50
	v_add_nc_u32_e32 v52, 1, v50
	ds_load_b32 v34, v34 offset:1028
.LBB27_326:
	s_or_b32 exec_lo, exec_lo, s11
	v_cmp_lt_i32_e64 s11, v32, v33
	s_xor_b32 s10, s10, -1
	v_mov_b32_e32 v35, v33
	v_mov_b32_e32 v53, v51
	s_delay_alu instid0(VALU_DEP_3) | instskip(NEXT) | instid1(SALU_CYCLE_1)
	s_or_b32 s9, s9, s11
	s_and_b32 s9, s10, s9
	s_delay_alu instid0(SALU_CYCLE_1) | instskip(NEXT) | instid1(SALU_CYCLE_1)
	s_xor_b32 s11, s9, -1
	s_and_saveexec_b32 s10, s11
	s_cbranch_execz .LBB27_328
; %bb.327:
	v_lshlrev_b32_e32 v35, 2, v51
	v_add_nc_u32_e32 v53, 1, v51
	ds_load_b32 v35, v35 offset:1028
.LBB27_328:
	s_or_b32 exec_lo, exec_lo, s10
	v_cmp_ge_i32_e64 s11, v52, v4
	s_waitcnt lgkmcnt(0)
	v_cmp_lt_i32_e64 s12, v35, v34
	v_cmp_ge_i32_e64 s10, v53, v7
	v_mov_b32_e32 v54, v52
	v_cndmask_b32_e64 v36, 0, 1, s11
	s_delay_alu instid0(VALU_DEP_4) | instskip(NEXT) | instid1(VALU_DEP_4)
	v_cndmask_b32_e64 v37, 0, 1, s12
	s_or_b32 s12, s11, s10
	s_delay_alu instid0(VALU_DEP_1) | instid1(SALU_CYCLE_1)
	v_cndmask_b32_e64 v36, v37, v36, s12
	s_delay_alu instid0(VALU_DEP_1) | instskip(NEXT) | instid1(VALU_DEP_1)
	v_and_b32_e32 v36, 1, v36
	v_cmp_eq_u32_e64 s25, 1, v36
	v_mov_b32_e32 v36, v34
	s_delay_alu instid0(VALU_DEP_2) | instskip(NEXT) | instid1(SALU_CYCLE_1)
	s_xor_b32 s13, s25, -1
	s_and_saveexec_b32 s12, s13
	s_cbranch_execz .LBB27_330
; %bb.329:
	v_lshlrev_b32_e32 v36, 2, v52
	v_add_nc_u32_e32 v54, 1, v52
	ds_load_b32 v36, v36 offset:1028
.LBB27_330:
	s_or_b32 exec_lo, exec_lo, s12
	v_cmp_lt_i32_e64 s12, v34, v35
	s_xor_b32 s11, s11, -1
	v_mov_b32_e32 v37, v35
	v_mov_b32_e32 v55, v53
	s_delay_alu instid0(VALU_DEP_3) | instskip(NEXT) | instid1(SALU_CYCLE_1)
	s_or_b32 s10, s10, s12
	s_and_b32 s10, s11, s10
	s_delay_alu instid0(SALU_CYCLE_1) | instskip(NEXT) | instid1(SALU_CYCLE_1)
	s_xor_b32 s12, s10, -1
	s_and_saveexec_b32 s11, s12
	s_cbranch_execz .LBB27_332
; %bb.331:
	v_lshlrev_b32_e32 v37, 2, v53
	v_add_nc_u32_e32 v55, 1, v53
	ds_load_b32 v37, v37 offset:1028
.LBB27_332:
	s_or_b32 exec_lo, exec_lo, s11
	v_cmp_ge_i32_e64 s12, v54, v4
	s_waitcnt lgkmcnt(0)
	v_cmp_lt_i32_e64 s13, v37, v36
	v_cmp_ge_i32_e64 s11, v55, v7
	v_mov_b32_e32 v56, v54
	v_cndmask_b32_e64 v38, 0, 1, s12
	s_delay_alu instid0(VALU_DEP_4) | instskip(NEXT) | instid1(VALU_DEP_4)
	v_cndmask_b32_e64 v39, 0, 1, s13
	s_or_b32 s13, s12, s11
	s_delay_alu instid0(VALU_DEP_1) | instid1(SALU_CYCLE_1)
	v_cndmask_b32_e64 v38, v39, v38, s13
	s_delay_alu instid0(VALU_DEP_1) | instskip(NEXT) | instid1(VALU_DEP_1)
	v_and_b32_e32 v38, 1, v38
	v_cmp_eq_u32_e64 s26, 1, v38
	v_mov_b32_e32 v38, v36
	s_delay_alu instid0(VALU_DEP_2) | instskip(NEXT) | instid1(SALU_CYCLE_1)
	s_xor_b32 s14, s26, -1
	s_and_saveexec_b32 s13, s14
	s_cbranch_execz .LBB27_334
; %bb.333:
	v_lshlrev_b32_e32 v38, 2, v54
	v_add_nc_u32_e32 v56, 1, v54
	ds_load_b32 v38, v38 offset:1028
.LBB27_334:
	s_or_b32 exec_lo, exec_lo, s13
	v_cmp_lt_i32_e64 s13, v36, v37
	s_xor_b32 s12, s12, -1
	v_mov_b32_e32 v39, v37
	v_mov_b32_e32 v57, v55
	s_delay_alu instid0(VALU_DEP_3) | instskip(NEXT) | instid1(SALU_CYCLE_1)
	s_or_b32 s11, s11, s13
	s_and_b32 s11, s12, s11
	s_delay_alu instid0(SALU_CYCLE_1) | instskip(NEXT) | instid1(SALU_CYCLE_1)
	s_xor_b32 s13, s11, -1
	s_and_saveexec_b32 s12, s13
	s_cbranch_execz .LBB27_336
; %bb.335:
	v_lshlrev_b32_e32 v39, 2, v55
	v_add_nc_u32_e32 v57, 1, v55
	ds_load_b32 v39, v39 offset:1028
.LBB27_336:
	s_or_b32 exec_lo, exec_lo, s12
	v_cmp_ge_i32_e64 s13, v56, v4
	s_waitcnt lgkmcnt(0)
	v_cmp_lt_i32_e64 s14, v39, v38
	v_cmp_ge_i32_e64 s12, v57, v7
	v_mov_b32_e32 v58, v56
	v_cndmask_b32_e64 v40, 0, 1, s13
	s_delay_alu instid0(VALU_DEP_4) | instskip(NEXT) | instid1(VALU_DEP_4)
	v_cndmask_b32_e64 v41, 0, 1, s14
	s_or_b32 s14, s13, s12
	s_delay_alu instid0(VALU_DEP_1) | instid1(SALU_CYCLE_1)
	v_cndmask_b32_e64 v40, v41, v40, s14
	s_delay_alu instid0(VALU_DEP_1) | instskip(NEXT) | instid1(VALU_DEP_1)
	v_and_b32_e32 v40, 1, v40
	v_cmp_eq_u32_e64 s27, 1, v40
	v_mov_b32_e32 v40, v38
	s_delay_alu instid0(VALU_DEP_2) | instskip(NEXT) | instid1(SALU_CYCLE_1)
	s_xor_b32 s15, s27, -1
	s_and_saveexec_b32 s14, s15
	s_cbranch_execz .LBB27_338
; %bb.337:
	v_lshlrev_b32_e32 v40, 2, v56
	v_add_nc_u32_e32 v58, 1, v56
	ds_load_b32 v40, v40 offset:1028
.LBB27_338:
	s_or_b32 exec_lo, exec_lo, s14
	v_cmp_lt_i32_e64 s14, v38, v39
	s_xor_b32 s13, s13, -1
	v_mov_b32_e32 v41, v39
	v_mov_b32_e32 v59, v57
	s_delay_alu instid0(VALU_DEP_3) | instskip(NEXT) | instid1(SALU_CYCLE_1)
	s_or_b32 s12, s12, s14
	s_and_b32 s12, s13, s12
	s_delay_alu instid0(SALU_CYCLE_1) | instskip(NEXT) | instid1(SALU_CYCLE_1)
	s_xor_b32 s14, s12, -1
	s_and_saveexec_b32 s13, s14
	s_cbranch_execz .LBB27_340
; %bb.339:
	v_lshlrev_b32_e32 v41, 2, v57
	v_add_nc_u32_e32 v59, 1, v57
	ds_load_b32 v41, v41 offset:1028
.LBB27_340:
	s_or_b32 exec_lo, exec_lo, s13
	v_cmp_ge_i32_e64 s14, v58, v4
	s_waitcnt lgkmcnt(0)
	v_cmp_lt_i32_e64 s15, v41, v40
	v_cmp_ge_i32_e64 s13, v59, v7
	v_mov_b32_e32 v60, v58
	v_cndmask_b32_e64 v42, 0, 1, s14
	s_delay_alu instid0(VALU_DEP_4) | instskip(NEXT) | instid1(VALU_DEP_4)
	v_cndmask_b32_e64 v43, 0, 1, s15
	s_or_b32 s15, s14, s13
	s_delay_alu instid0(VALU_DEP_1) | instid1(SALU_CYCLE_1)
	v_cndmask_b32_e64 v42, v43, v42, s15
	s_delay_alu instid0(VALU_DEP_1) | instskip(NEXT) | instid1(VALU_DEP_1)
	v_and_b32_e32 v42, 1, v42
	v_cmp_eq_u32_e64 s28, 1, v42
	v_mov_b32_e32 v42, v40
	s_delay_alu instid0(VALU_DEP_2) | instskip(NEXT) | instid1(SALU_CYCLE_1)
	s_xor_b32 s16, s28, -1
	s_and_saveexec_b32 s15, s16
	s_cbranch_execz .LBB27_342
; %bb.341:
	v_lshlrev_b32_e32 v42, 2, v58
	v_add_nc_u32_e32 v60, 1, v58
	ds_load_b32 v42, v42 offset:1028
.LBB27_342:
	s_or_b32 exec_lo, exec_lo, s15
	v_cmp_lt_i32_e64 s15, v40, v41
	s_xor_b32 s14, s14, -1
	v_mov_b32_e32 v43, v41
	v_mov_b32_e32 v61, v59
	s_delay_alu instid0(VALU_DEP_3) | instskip(NEXT) | instid1(SALU_CYCLE_1)
	s_or_b32 s13, s13, s15
	s_and_b32 s13, s14, s13
	s_delay_alu instid0(SALU_CYCLE_1) | instskip(NEXT) | instid1(SALU_CYCLE_1)
	s_xor_b32 s15, s13, -1
	s_and_saveexec_b32 s14, s15
	s_cbranch_execz .LBB27_344
; %bb.343:
	v_lshlrev_b32_e32 v43, 2, v59
	v_add_nc_u32_e32 v61, 1, v59
	ds_load_b32 v43, v43 offset:1028
.LBB27_344:
	s_or_b32 exec_lo, exec_lo, s14
	v_cmp_ge_i32_e64 s15, v60, v4
	s_waitcnt lgkmcnt(0)
	v_cmp_lt_i32_e64 s16, v43, v42
	v_cmp_ge_i32_e64 s14, v61, v7
	v_mov_b32_e32 v62, v60
	v_cndmask_b32_e64 v44, 0, 1, s15
	s_delay_alu instid0(VALU_DEP_4) | instskip(NEXT) | instid1(VALU_DEP_4)
	v_cndmask_b32_e64 v45, 0, 1, s16
	s_or_b32 s16, s15, s14
	s_delay_alu instid0(VALU_DEP_1) | instid1(SALU_CYCLE_1)
	v_cndmask_b32_e64 v44, v45, v44, s16
	s_delay_alu instid0(VALU_DEP_1) | instskip(NEXT) | instid1(VALU_DEP_1)
	v_and_b32_e32 v44, 1, v44
	v_cmp_eq_u32_e64 s29, 1, v44
	v_mov_b32_e32 v44, v42
	s_delay_alu instid0(VALU_DEP_2) | instskip(NEXT) | instid1(SALU_CYCLE_1)
	s_xor_b32 s30, s29, -1
	s_and_saveexec_b32 s16, s30
	s_cbranch_execz .LBB27_346
; %bb.345:
	v_lshlrev_b32_e32 v44, 2, v60
	v_add_nc_u32_e32 v62, 1, v60
	ds_load_b32 v44, v44 offset:1028
.LBB27_346:
	s_or_b32 exec_lo, exec_lo, s16
	v_cmp_lt_i32_e64 s16, v42, v43
	s_xor_b32 s15, s15, -1
	v_mov_b32_e32 v45, v43
	v_mov_b32_e32 v63, v61
	s_delay_alu instid0(VALU_DEP_3) | instskip(NEXT) | instid1(SALU_CYCLE_1)
	s_or_b32 s14, s14, s16
	s_and_b32 s14, s15, s14
	s_delay_alu instid0(SALU_CYCLE_1) | instskip(NEXT) | instid1(SALU_CYCLE_1)
	s_xor_b32 s16, s14, -1
	s_and_saveexec_b32 s15, s16
	s_cbranch_execz .LBB27_348
; %bb.347:
	v_lshlrev_b32_e32 v45, 2, v61
	v_add_nc_u32_e32 v63, 1, v61
	ds_load_b32 v45, v45 offset:1028
.LBB27_348:
	s_or_b32 exec_lo, exec_lo, s15
	v_cmp_ge_i32_e64 s16, v62, v4
	s_waitcnt lgkmcnt(0)
	v_cmp_lt_i32_e64 s30, v45, v44
	v_cmp_ge_i32_e64 s15, v63, v7
	v_mov_b32_e32 v64, v62
	v_cndmask_b32_e64 v46, 0, 1, s16
	s_delay_alu instid0(VALU_DEP_4) | instskip(NEXT) | instid1(VALU_DEP_4)
	v_cndmask_b32_e64 v47, 0, 1, s30
	s_or_b32 s30, s16, s15
	s_delay_alu instid0(VALU_DEP_1) | instid1(SALU_CYCLE_1)
	v_cndmask_b32_e64 v46, v47, v46, s30
	s_delay_alu instid0(VALU_DEP_1) | instskip(NEXT) | instid1(VALU_DEP_1)
	v_and_b32_e32 v46, 1, v46
	v_cmp_eq_u32_e64 s30, 1, v46
	v_mov_b32_e32 v46, v44
	s_delay_alu instid0(VALU_DEP_2) | instskip(NEXT) | instid1(SALU_CYCLE_1)
	s_xor_b32 s33, s30, -1
	s_and_saveexec_b32 s31, s33
	s_cbranch_execz .LBB27_350
; %bb.349:
	v_lshlrev_b32_e32 v46, 2, v62
	v_add_nc_u32_e32 v64, 1, v62
	ds_load_b32 v46, v46 offset:1028
.LBB27_350:
	s_or_b32 exec_lo, exec_lo, s31
	v_cmp_lt_i32_e64 s31, v44, v45
	s_xor_b32 s16, s16, -1
	v_mov_b32_e32 v47, v45
	v_mov_b32_e32 v65, v63
	s_delay_alu instid0(VALU_DEP_3) | instskip(NEXT) | instid1(SALU_CYCLE_1)
	s_or_b32 s15, s15, s31
	s_and_b32 s15, s16, s15
	s_delay_alu instid0(SALU_CYCLE_1) | instskip(NEXT) | instid1(SALU_CYCLE_1)
	s_xor_b32 s31, s15, -1
	s_and_saveexec_b32 s16, s31
	s_cbranch_execz .LBB27_352
; %bb.351:
	v_lshlrev_b32_e32 v47, 2, v63
	v_add_nc_u32_e32 v65, 1, v63
	ds_load_b32 v47, v47 offset:1028
.LBB27_352:
	s_or_b32 exec_lo, exec_lo, s16
	v_cmp_ge_i32_e64 s31, v64, v4
	s_waitcnt lgkmcnt(0)
	v_cmp_lt_i32_e64 s33, v47, v46
	v_cmp_ge_i32_e64 s16, v65, v7
	s_xor_b32 s47, s28, s13
	v_add_nc_u32_e32 v3, v5, v3
	v_cndmask_b32_e64 v66, 0, 1, s31
	v_cndmask_b32_e64 v67, 0, 1, s33
	s_or_b32 s31, s31, s16
	v_cmp_lt_i32_e64 s33, v46, v47
	s_xor_b32 s49, s26, s11
	v_add_nc_u32_e32 v0, v2, v0
	v_cndmask_b32_e64 v66, v67, v66, s31
	v_cmp_lt_i32_e64 s31, v64, v4
	v_add_nc_u32_e32 v4, v7, v4
	v_add_nc_u32_e32 v7, v63, v62
	s_or_b32 s16, s16, s33
	v_add_nc_u32_e32 v64, v65, v64
	s_and_b32 s16, s31, s16
	v_and_b32_e32 v65, 1, v66
	v_cmp_lt_i32_e64 s31, v7, v4
	v_add_nc_u32_e32 v7, v57, v56
	v_cmp_lt_i32_e64 s36, v3, v4
	v_add_nc_u32_e32 v1, s37, v1
	v_cmp_eq_u32_e64 s34, 1, v65
	s_xor_b32 s54, s19, s4
	v_cmp_lt_i32_e64 s28, v7, v4
	v_add_nc_u32_e32 v7, v53, v52
	s_xor_b32 s19, s18, s3
	s_xor_b32 s39, s34, s16
	v_add_nc_u32_e32 v6, v8, v6
	v_cmp_lt_i32_e64 s18, v0, v4
	v_cmp_lt_i32_e64 s26, v7, v4
	v_add_nc_u32_e32 v7, v49, v48
	s_and_b32 s36, s36, s19
	v_cmp_lt_i32_e64 s19, v1, v4
	s_xor_b32 s17, s17, s2
	s_xor_b32 s38, vcc_lo, s1
	v_cmp_lt_i32_e64 s34, v7, v4
	v_add_nc_u32_e32 v7, v10, v9
	v_mov_b32_e32 v9, 0
	v_add_nc_u32_e32 v13, v14, v13
	v_add_nc_u32_e32 v11, v12, v11
	s_xor_b32 s52, s21, s6
	v_cmp_lt_i32_e64 s21, v7, v4
	s_xor_b32 s53, s20, s5
	v_cmp_lt_i32_e64 s20, v6, v4
	s_and_b32 s37, s18, s17
	s_and_b32 s38, s19, s38
	v_add_nc_u32_e32 v60, v61, v60
	v_add_nc_u32_e32 v58, v59, v58
	;; [unrolled: 1-line block ×4, first 2 shown]
	v_cndmask_b32_e64 v0, 0, 4, s36
	v_cndmask_b32_e64 v1, 0, 2, s37
	;; [unrolled: 1-line block ×3, first 2 shown]
	v_cmp_lt_i32_e64 s35, v13, v4
	s_xor_b32 s51, s22, s7
	v_cmp_lt_i32_e64 s22, v11, v4
	s_and_b32 s19, s21, s53
	s_and_b32 s20, s20, s54
	v_cmp_lt_i32_e64 s33, v64, v4
	s_xor_b32 s45, s30, s15
	v_cmp_lt_i32_e64 s30, v60, v4
	s_xor_b32 s46, s29, s14
	;; [unrolled: 2-line block ×4, first 2 shown]
	v_cmp_lt_i32_e64 s25, v50, v4
	v_cndmask_b32_e64 v3, 0, 16, s19
	v_cndmask_b32_e64 v4, 0, 8, s20
	v_or3_b32 v0, v1, v2, v0
	s_and_b32 s17, s35, s51
	s_and_b32 s18, s22, s52
	v_cndmask_b32_e64 v1, 0, 64, s17
	v_cndmask_b32_e64 v2, 0, 32, s18
	v_or3_b32 v0, v0, v4, v3
	s_xor_b32 s17, s23, s8
	s_xor_b32 s21, s24, s9
	s_and_b32 s17, s34, s17
	v_mbcnt_lo_u32_b32 v54, -1, 0
	v_cndmask_b32_e64 v3, 0, 0x80, s17
	v_or3_b32 v53, v0, v2, v1
	s_and_b32 s17, s26, s50
	s_delay_alu instid0(SALU_CYCLE_1) | instskip(SKIP_1) | instid1(VALU_DEP_2)
	v_cndmask_b32_e64 v0, 0, 0x200, s17
	s_and_b32 s17, s25, s21
	v_or_b32_e32 v52, v3, v53
	v_cndmask_b32_e64 v1, 0, 0x100, s17
	s_and_b32 s17, s28, s48
	s_barrier
	v_cndmask_b32_e64 v2, 0, 0x800, s17
	s_and_b32 s17, s27, s49
	v_or3_b32 v51, v1, v0, v52
	v_cndmask_b32_e64 v3, 0, 0x400, s17
	s_and_b32 s17, s30, s46
	buffer_gl0_inv
	v_cndmask_b32_e64 v0, 0, 0x2000, s17
	s_and_b32 s17, s29, s47
	v_or3_b32 v50, v3, v2, v51
	v_cndmask_b32_e64 v1, 0, 0x1000, s17
	s_and_b32 s17, s33, s39
	s_delay_alu instid0(SALU_CYCLE_1) | instskip(SKIP_1) | instid1(VALU_DEP_2)
	v_cndmask_b32_e64 v2, 0, 0x8000, s17
	s_and_b32 s17, s31, s45
	v_or3_b32 v49, v1, v0, v50
	v_cndmask_b32_e64 v3, 0, 0x4000, s17
	s_cmp_lg_u32 s44, 0
	s_delay_alu instid0(VALU_DEP_1) | instskip(NEXT) | instid1(VALU_DEP_1)
	v_or3_b32 v48, v3, v2, v49
	v_bcnt_u32_b32 v8, v48, 0
	s_cbranch_scc0 .LBB27_414
; %bb.353:
	s_delay_alu instid0(VALU_DEP_1)
	v_dual_mov_b32 v3, v8 :: v_dual_and_b32 v4, 15, v54
	v_mov_b32_dpp v6, v8 row_shr:1 row_mask:0xf bank_mask:0xf
	v_mov_b32_dpp v5, v9 row_shr:1 row_mask:0xf bank_mask:0xf
	v_mov_b32_e32 v2, v9
	v_dual_mov_b32 v0, v8 :: v_dual_mov_b32 v1, v9
	s_mov_b32 s17, exec_lo
	v_cmpx_ne_u32_e32 0, v4
; %bb.354:
	v_add_co_u32 v3, s21, v6, v8
	s_delay_alu instid0(VALU_DEP_1) | instskip(NEXT) | instid1(VALU_DEP_2)
	v_add_co_ci_u32_e64 v0, null, 0, 0, s21
	v_add_co_u32 v1, vcc_lo, 0, v3
	s_delay_alu instid0(VALU_DEP_2) | instskip(NEXT) | instid1(VALU_DEP_2)
	v_add_co_ci_u32_e32 v2, vcc_lo, v5, v0, vcc_lo
	v_mov_b32_e32 v0, v1
	s_delay_alu instid0(VALU_DEP_2)
	v_mov_b32_e32 v1, v2
; %bb.355:
	s_or_b32 exec_lo, exec_lo, s17
	v_mov_b32_dpp v6, v3 row_shr:2 row_mask:0xf bank_mask:0xf
	v_mov_b32_dpp v5, v2 row_shr:2 row_mask:0xf bank_mask:0xf
	s_mov_b32 s17, exec_lo
	v_cmpx_lt_u32_e32 1, v4
; %bb.356:
	s_delay_alu instid0(VALU_DEP_3) | instskip(SKIP_1) | instid1(VALU_DEP_2)
	v_add_co_u32 v3, vcc_lo, v0, v6
	v_add_co_ci_u32_e32 v0, vcc_lo, 0, v1, vcc_lo
	v_add_co_u32 v1, vcc_lo, 0, v3
	s_delay_alu instid0(VALU_DEP_2) | instskip(NEXT) | instid1(VALU_DEP_2)
	v_add_co_ci_u32_e32 v2, vcc_lo, v5, v0, vcc_lo
	v_mov_b32_e32 v0, v1
	s_delay_alu instid0(VALU_DEP_2)
	v_mov_b32_e32 v1, v2
; %bb.357:
	s_or_b32 exec_lo, exec_lo, s17
	v_mov_b32_dpp v6, v3 row_shr:4 row_mask:0xf bank_mask:0xf
	v_mov_b32_dpp v5, v2 row_shr:4 row_mask:0xf bank_mask:0xf
	s_mov_b32 s17, exec_lo
	v_cmpx_lt_u32_e32 3, v4
; %bb.358:
	s_delay_alu instid0(VALU_DEP_3) | instskip(SKIP_1) | instid1(VALU_DEP_2)
	v_add_co_u32 v3, vcc_lo, v0, v6
	v_add_co_ci_u32_e32 v0, vcc_lo, 0, v1, vcc_lo
	;; [unrolled: 16-line block ×3, first 2 shown]
	v_add_co_u32 v0, vcc_lo, 0, v3
	s_delay_alu instid0(VALU_DEP_2) | instskip(NEXT) | instid1(VALU_DEP_1)
	v_add_co_ci_u32_e32 v1, vcc_lo, v5, v1, vcc_lo
	v_mov_b32_e32 v2, v1
; %bb.361:
	s_or_b32 exec_lo, exec_lo, s17
	ds_swizzle_b32 v4, v3 offset:swizzle(BROADCAST,32,15)
	ds_swizzle_b32 v2, v2 offset:swizzle(BROADCAST,32,15)
	v_and_b32_e32 v5, 16, v54
	s_mov_b32 s17, exec_lo
	s_delay_alu instid0(VALU_DEP_1)
	v_cmpx_ne_u32_e32 0, v5
	s_cbranch_execz .LBB27_363
; %bb.362:
	s_waitcnt lgkmcnt(1)
	v_add_co_u32 v3, vcc_lo, v0, v4
	v_add_co_ci_u32_e32 v1, vcc_lo, 0, v1, vcc_lo
	s_delay_alu instid0(VALU_DEP_2) | instskip(SKIP_1) | instid1(VALU_DEP_2)
	v_add_co_u32 v0, vcc_lo, 0, v3
	s_waitcnt lgkmcnt(0)
	v_add_co_ci_u32_e32 v1, vcc_lo, v2, v1, vcc_lo
.LBB27_363:
	s_or_b32 exec_lo, exec_lo, s17
	s_waitcnt lgkmcnt(0)
	v_and_b32_e32 v2, 0x3e0, v16
	s_mov_b32 s17, exec_lo
	s_delay_alu instid0(VALU_DEP_1) | instskip(NEXT) | instid1(VALU_DEP_1)
	v_min_u32_e32 v2, 0xe0, v2
	v_or_b32_e32 v4, 31, v2
	v_lshrrev_b32_e32 v2, 5, v16
	s_delay_alu instid0(VALU_DEP_2)
	v_cmpx_eq_u32_e64 v4, v16
	s_cbranch_execz .LBB27_365
; %bb.364:
	s_delay_alu instid0(VALU_DEP_2)
	v_lshlrev_b32_e32 v4, 3, v2
	ds_store_b64 v4, v[0:1]
.LBB27_365:
	s_or_b32 exec_lo, exec_lo, s17
	s_delay_alu instid0(SALU_CYCLE_1)
	s_mov_b32 s17, exec_lo
	s_waitcnt lgkmcnt(0)
	s_barrier
	buffer_gl0_inv
	v_cmpx_gt_u32_e32 8, v16
	s_cbranch_execz .LBB27_373
; %bb.366:
	v_lshlrev_b32_e32 v4, 3, v16
	s_mov_b32 s21, exec_lo
	ds_load_b64 v[0:1], v4
	s_waitcnt lgkmcnt(0)
	v_dual_mov_b32 v6, v0 :: v_dual_and_b32 v5, 7, v54
	v_mov_b32_dpp v10, v0 row_shr:1 row_mask:0xf bank_mask:0xf
	v_mov_b32_dpp v7, v1 row_shr:1 row_mask:0xf bank_mask:0xf
	s_delay_alu instid0(VALU_DEP_3)
	v_cmpx_ne_u32_e32 0, v5
; %bb.367:
	s_delay_alu instid0(VALU_DEP_3) | instskip(SKIP_1) | instid1(VALU_DEP_2)
	v_add_co_u32 v6, vcc_lo, v0, v10
	v_add_co_ci_u32_e32 v1, vcc_lo, 0, v1, vcc_lo
	v_add_co_u32 v0, vcc_lo, 0, v6
	s_delay_alu instid0(VALU_DEP_2)
	v_add_co_ci_u32_e32 v1, vcc_lo, v7, v1, vcc_lo
; %bb.368:
	s_or_b32 exec_lo, exec_lo, s21
	v_mov_b32_dpp v10, v6 row_shr:2 row_mask:0xf bank_mask:0xf
	s_delay_alu instid0(VALU_DEP_2)
	v_mov_b32_dpp v7, v1 row_shr:2 row_mask:0xf bank_mask:0xf
	s_mov_b32 s21, exec_lo
	v_cmpx_lt_u32_e32 1, v5
; %bb.369:
	s_delay_alu instid0(VALU_DEP_3) | instskip(SKIP_1) | instid1(VALU_DEP_2)
	v_add_co_u32 v6, vcc_lo, v0, v10
	v_add_co_ci_u32_e32 v1, vcc_lo, 0, v1, vcc_lo
	v_add_co_u32 v0, vcc_lo, 0, v6
	s_delay_alu instid0(VALU_DEP_2)
	v_add_co_ci_u32_e32 v1, vcc_lo, v7, v1, vcc_lo
; %bb.370:
	s_or_b32 exec_lo, exec_lo, s21
	v_mov_b32_dpp v7, v6 row_shr:4 row_mask:0xf bank_mask:0xf
	s_delay_alu instid0(VALU_DEP_2)
	v_mov_b32_dpp v6, v1 row_shr:4 row_mask:0xf bank_mask:0xf
	s_mov_b32 s21, exec_lo
	v_cmpx_lt_u32_e32 3, v5
; %bb.371:
	s_delay_alu instid0(VALU_DEP_3) | instskip(SKIP_1) | instid1(VALU_DEP_2)
	v_add_co_u32 v0, vcc_lo, v0, v7
	v_add_co_ci_u32_e32 v1, vcc_lo, 0, v1, vcc_lo
	v_add_co_u32 v0, vcc_lo, v0, 0
	s_delay_alu instid0(VALU_DEP_2)
	v_add_co_ci_u32_e32 v1, vcc_lo, v1, v6, vcc_lo
; %bb.372:
	s_or_b32 exec_lo, exec_lo, s21
	ds_store_b64 v4, v[0:1]
.LBB27_373:
	s_or_b32 exec_lo, exec_lo, s17
	v_cmp_gt_u32_e32 vcc_lo, 32, v16
	s_mov_b32 s21, exec_lo
	s_waitcnt lgkmcnt(0)
	s_barrier
	buffer_gl0_inv
                                        ; implicit-def: $vgpr10_vgpr11
	v_cmpx_lt_u32_e32 31, v16
	s_cbranch_execz .LBB27_375
; %bb.374:
	v_lshl_add_u32 v0, v2, 3, -8
	ds_load_b64 v[10:11], v0
	s_waitcnt lgkmcnt(0)
	v_add_nc_u32_e32 v3, v3, v10
.LBB27_375:
	s_or_b32 exec_lo, exec_lo, s21
	v_add_nc_u32_e32 v0, -1, v54
	s_delay_alu instid0(VALU_DEP_1) | instskip(NEXT) | instid1(VALU_DEP_1)
	v_cmp_gt_i32_e64 s17, 0, v0
	v_cndmask_b32_e64 v0, v0, v54, s17
	v_cmp_eq_u32_e64 s17, 0, v54
	s_delay_alu instid0(VALU_DEP_2)
	v_lshlrev_b32_e32 v0, 2, v0
	ds_bpermute_b32 v55, v0, v3
	s_and_saveexec_b32 s21, vcc_lo
	s_cbranch_execz .LBB27_413
; %bb.376:
	v_mov_b32_e32 v3, 0
	ds_load_b64 v[0:1], v3 offset:56
	s_and_saveexec_b32 s22, s17
	s_cbranch_execz .LBB27_378
; %bb.377:
	s_add_i32 s24, s44, 32
	s_mov_b32 s25, 0
	s_delay_alu instid0(SALU_CYCLE_1) | instskip(NEXT) | instid1(SALU_CYCLE_1)
	s_lshl_b64 s[24:25], s[24:25], 4
	s_add_u32 s24, s40, s24
	s_addc_u32 s25, s41, s25
	v_mov_b32_e32 v4, s24
	v_dual_mov_b32 v2, 1 :: v_dual_mov_b32 v5, s25
	s_waitcnt lgkmcnt(0)
	;;#ASMSTART
	global_store_dwordx4 v[4:5], v[0:3] off	
s_waitcnt vmcnt(0)
	;;#ASMEND
.LBB27_378:
	s_or_b32 exec_lo, exec_lo, s22
	v_xad_u32 v11, v54, -1, s44
	s_mov_b32 s23, 0
	s_mov_b32 s22, exec_lo
	s_delay_alu instid0(VALU_DEP_1) | instskip(NEXT) | instid1(VALU_DEP_1)
	v_add_nc_u32_e32 v2, 32, v11
	v_lshlrev_b64 v[2:3], 4, v[2:3]
	s_delay_alu instid0(VALU_DEP_1) | instskip(NEXT) | instid1(VALU_DEP_2)
	v_add_co_u32 v2, vcc_lo, s40, v2
	v_add_co_ci_u32_e32 v3, vcc_lo, s41, v3, vcc_lo
	;;#ASMSTART
	global_load_dwordx4 v[4:7], v[2:3] off glc	
s_waitcnt vmcnt(0)
	;;#ASMEND
	v_and_b32_e32 v7, 0xff, v5
	v_and_b32_e32 v12, 0xff00, v5
	;; [unrolled: 1-line block ×3, first 2 shown]
	v_or3_b32 v4, v4, 0, 0
	v_and_b32_e32 v5, 0xff000000, v5
	s_delay_alu instid0(VALU_DEP_4) | instskip(SKIP_1) | instid1(VALU_DEP_4)
	v_or3_b32 v7, 0, v7, v12
	v_and_b32_e32 v12, 0xff, v6
	v_or3_b32 v4, v4, 0, 0
	s_delay_alu instid0(VALU_DEP_3) | instskip(NEXT) | instid1(VALU_DEP_3)
	v_or3_b32 v5, v7, v13, v5
	v_cmpx_eq_u16_e32 0, v12
	s_cbranch_execz .LBB27_381
.LBB27_379:                             ; =>This Inner Loop Header: Depth=1
	;;#ASMSTART
	global_load_dwordx4 v[4:7], v[2:3] off glc	
s_waitcnt vmcnt(0)
	;;#ASMEND
	v_and_b32_e32 v7, 0xff, v6
	s_delay_alu instid0(VALU_DEP_1) | instskip(SKIP_1) | instid1(SALU_CYCLE_1)
	v_cmp_ne_u16_e32 vcc_lo, 0, v7
	s_or_b32 s23, vcc_lo, s23
	s_and_not1_b32 exec_lo, exec_lo, s23
	s_cbranch_execnz .LBB27_379
; %bb.380:
	s_or_b32 exec_lo, exec_lo, s23
.LBB27_381:
	s_delay_alu instid0(SALU_CYCLE_1)
	s_or_b32 exec_lo, exec_lo, s22
	v_cmp_ne_u32_e32 vcc_lo, 31, v54
	v_and_b32_e32 v3, 0xff, v6
	v_lshlrev_b32_e64 v57, v54, -1
	s_mov_b32 s22, exec_lo
	v_add_co_ci_u32_e32 v2, vcc_lo, 0, v54, vcc_lo
	s_delay_alu instid0(VALU_DEP_3) | instskip(NEXT) | instid1(VALU_DEP_2)
	v_cmp_eq_u16_e32 vcc_lo, 2, v3
	v_dual_mov_b32 v3, v4 :: v_dual_lshlrev_b32 v56, 2, v2
	v_and_or_b32 v2, vcc_lo, v57, 0x80000000
	ds_bpermute_b32 v12, v56, v4
	ds_bpermute_b32 v7, v56, v5
	v_ctz_i32_b32_e32 v2, v2
	s_delay_alu instid0(VALU_DEP_1)
	v_cmpx_lt_u32_e64 v54, v2
	s_cbranch_execz .LBB27_383
; %bb.382:
	s_waitcnt lgkmcnt(1)
	v_add_co_u32 v3, vcc_lo, v4, v12
	v_add_co_ci_u32_e32 v5, vcc_lo, 0, v5, vcc_lo
	s_delay_alu instid0(VALU_DEP_2) | instskip(SKIP_1) | instid1(VALU_DEP_2)
	v_add_co_u32 v4, vcc_lo, 0, v3
	s_waitcnt lgkmcnt(0)
	v_add_co_ci_u32_e32 v5, vcc_lo, v7, v5, vcc_lo
.LBB27_383:
	s_or_b32 exec_lo, exec_lo, s22
	v_cmp_gt_u32_e32 vcc_lo, 30, v54
	v_add_nc_u32_e32 v59, 2, v54
	s_mov_b32 s22, exec_lo
	s_waitcnt lgkmcnt(0)
	v_cndmask_b32_e64 v7, 0, 1, vcc_lo
	s_delay_alu instid0(VALU_DEP_1) | instskip(NEXT) | instid1(VALU_DEP_1)
	v_lshlrev_b32_e32 v7, 1, v7
	v_add_lshl_u32 v58, v7, v54, 2
	ds_bpermute_b32 v12, v58, v3
	ds_bpermute_b32 v7, v58, v5
	v_cmpx_le_u32_e64 v59, v2
	s_cbranch_execz .LBB27_385
; %bb.384:
	s_waitcnt lgkmcnt(1)
	v_add_co_u32 v3, vcc_lo, v4, v12
	v_add_co_ci_u32_e32 v5, vcc_lo, 0, v5, vcc_lo
	s_delay_alu instid0(VALU_DEP_2) | instskip(SKIP_1) | instid1(VALU_DEP_2)
	v_add_co_u32 v4, vcc_lo, 0, v3
	s_waitcnt lgkmcnt(0)
	v_add_co_ci_u32_e32 v5, vcc_lo, v7, v5, vcc_lo
.LBB27_385:
	s_or_b32 exec_lo, exec_lo, s22
	v_cmp_gt_u32_e32 vcc_lo, 28, v54
	v_add_nc_u32_e32 v61, 4, v54
	s_mov_b32 s22, exec_lo
	s_waitcnt lgkmcnt(0)
	v_cndmask_b32_e64 v7, 0, 1, vcc_lo
	s_delay_alu instid0(VALU_DEP_1) | instskip(NEXT) | instid1(VALU_DEP_1)
	v_lshlrev_b32_e32 v7, 2, v7
	v_add_lshl_u32 v60, v7, v54, 2
	ds_bpermute_b32 v12, v60, v3
	ds_bpermute_b32 v7, v60, v5
	v_cmpx_le_u32_e64 v61, v2
	;; [unrolled: 22-line block ×4, first 2 shown]
	s_cbranch_execz .LBB27_391
; %bb.390:
	s_waitcnt lgkmcnt(1)
	v_add_co_u32 v2, vcc_lo, v4, v7
	v_add_co_ci_u32_e32 v5, vcc_lo, 0, v5, vcc_lo
	s_delay_alu instid0(VALU_DEP_2) | instskip(SKIP_1) | instid1(VALU_DEP_2)
	v_add_co_u32 v4, vcc_lo, v2, 0
	s_waitcnt lgkmcnt(0)
	v_add_co_ci_u32_e32 v5, vcc_lo, v5, v3, vcc_lo
.LBB27_391:
	s_or_b32 exec_lo, exec_lo, s22
	v_mov_b32_e32 v12, 0
	s_branch .LBB27_393
.LBB27_392:                             ;   in Loop: Header=BB27_393 Depth=1
	s_or_b32 exec_lo, exec_lo, s22
	v_add_co_u32 v4, vcc_lo, v4, v2
	v_subrev_nc_u32_e32 v11, 32, v11
	v_add_co_ci_u32_e32 v5, vcc_lo, v5, v3, vcc_lo
.LBB27_393:                             ; =>This Loop Header: Depth=1
                                        ;     Child Loop BB27_396 Depth 2
	v_and_b32_e32 v2, 0xff, v6
	s_delay_alu instid0(VALU_DEP_1) | instskip(SKIP_2) | instid1(VALU_DEP_1)
	v_cmp_ne_u16_e32 vcc_lo, 2, v2
	v_cndmask_b32_e64 v2, 0, 1, vcc_lo
	;;#ASMSTART
	;;#ASMEND
	v_cmp_ne_u32_e32 vcc_lo, 0, v2
	s_waitcnt lgkmcnt(0)
	v_dual_mov_b32 v2, v4 :: v_dual_mov_b32 v3, v5
	s_cmp_lg_u32 vcc_lo, exec_lo
	s_cbranch_scc1 .LBB27_408
; %bb.394:                              ;   in Loop: Header=BB27_393 Depth=1
	v_lshlrev_b64 v[4:5], 4, v[11:12]
	s_mov_b32 s22, exec_lo
	s_delay_alu instid0(VALU_DEP_1) | instskip(NEXT) | instid1(VALU_DEP_2)
	v_add_co_u32 v13, vcc_lo, s40, v4
	v_add_co_ci_u32_e32 v14, vcc_lo, s41, v5, vcc_lo
	;;#ASMSTART
	global_load_dwordx4 v[4:7], v[13:14] off glc	
s_waitcnt vmcnt(0)
	;;#ASMEND
	v_and_b32_e32 v7, 0xff, v5
	v_and_b32_e32 v66, 0xff00, v5
	;; [unrolled: 1-line block ×3, first 2 shown]
	v_or3_b32 v4, v4, 0, 0
	v_and_b32_e32 v5, 0xff000000, v5
	s_delay_alu instid0(VALU_DEP_4) | instskip(SKIP_1) | instid1(VALU_DEP_4)
	v_or3_b32 v7, 0, v7, v66
	v_and_b32_e32 v66, 0xff, v6
	v_or3_b32 v4, v4, 0, 0
	s_delay_alu instid0(VALU_DEP_3) | instskip(NEXT) | instid1(VALU_DEP_3)
	v_or3_b32 v5, v7, v67, v5
	v_cmpx_eq_u16_e32 0, v66
	s_cbranch_execz .LBB27_398
; %bb.395:                              ;   in Loop: Header=BB27_393 Depth=1
	s_mov_b32 s23, 0
.LBB27_396:                             ;   Parent Loop BB27_393 Depth=1
                                        ; =>  This Inner Loop Header: Depth=2
	;;#ASMSTART
	global_load_dwordx4 v[4:7], v[13:14] off glc	
s_waitcnt vmcnt(0)
	;;#ASMEND
	v_and_b32_e32 v7, 0xff, v6
	s_delay_alu instid0(VALU_DEP_1) | instskip(SKIP_1) | instid1(SALU_CYCLE_1)
	v_cmp_ne_u16_e32 vcc_lo, 0, v7
	s_or_b32 s23, vcc_lo, s23
	s_and_not1_b32 exec_lo, exec_lo, s23
	s_cbranch_execnz .LBB27_396
; %bb.397:                              ;   in Loop: Header=BB27_393 Depth=1
	s_or_b32 exec_lo, exec_lo, s23
.LBB27_398:                             ;   in Loop: Header=BB27_393 Depth=1
	s_delay_alu instid0(SALU_CYCLE_1)
	s_or_b32 exec_lo, exec_lo, s22
	v_and_b32_e32 v7, 0xff, v6
	ds_bpermute_b32 v66, v56, v4
	ds_bpermute_b32 v14, v56, v5
	v_mov_b32_e32 v13, v4
	s_mov_b32 s22, exec_lo
	v_cmp_eq_u16_e32 vcc_lo, 2, v7
	v_and_or_b32 v7, vcc_lo, v57, 0x80000000
	s_delay_alu instid0(VALU_DEP_1) | instskip(NEXT) | instid1(VALU_DEP_1)
	v_ctz_i32_b32_e32 v7, v7
	v_cmpx_lt_u32_e64 v54, v7
	s_cbranch_execz .LBB27_400
; %bb.399:                              ;   in Loop: Header=BB27_393 Depth=1
	s_waitcnt lgkmcnt(1)
	v_add_co_u32 v13, vcc_lo, v4, v66
	v_add_co_ci_u32_e32 v5, vcc_lo, 0, v5, vcc_lo
	s_delay_alu instid0(VALU_DEP_2) | instskip(SKIP_1) | instid1(VALU_DEP_2)
	v_add_co_u32 v4, vcc_lo, 0, v13
	s_waitcnt lgkmcnt(0)
	v_add_co_ci_u32_e32 v5, vcc_lo, v14, v5, vcc_lo
.LBB27_400:                             ;   in Loop: Header=BB27_393 Depth=1
	s_or_b32 exec_lo, exec_lo, s22
	s_waitcnt lgkmcnt(1)
	ds_bpermute_b32 v66, v58, v13
	s_waitcnt lgkmcnt(1)
	ds_bpermute_b32 v14, v58, v5
	s_mov_b32 s22, exec_lo
	v_cmpx_le_u32_e64 v59, v7
	s_cbranch_execz .LBB27_402
; %bb.401:                              ;   in Loop: Header=BB27_393 Depth=1
	s_waitcnt lgkmcnt(1)
	v_add_co_u32 v13, vcc_lo, v4, v66
	v_add_co_ci_u32_e32 v5, vcc_lo, 0, v5, vcc_lo
	s_delay_alu instid0(VALU_DEP_2) | instskip(SKIP_1) | instid1(VALU_DEP_2)
	v_add_co_u32 v4, vcc_lo, 0, v13
	s_waitcnt lgkmcnt(0)
	v_add_co_ci_u32_e32 v5, vcc_lo, v14, v5, vcc_lo
.LBB27_402:                             ;   in Loop: Header=BB27_393 Depth=1
	s_or_b32 exec_lo, exec_lo, s22
	s_waitcnt lgkmcnt(1)
	ds_bpermute_b32 v66, v60, v13
	s_waitcnt lgkmcnt(1)
	ds_bpermute_b32 v14, v60, v5
	s_mov_b32 s22, exec_lo
	v_cmpx_le_u32_e64 v61, v7
	;; [unrolled: 17-line block ×3, first 2 shown]
	s_cbranch_execz .LBB27_406
; %bb.405:                              ;   in Loop: Header=BB27_393 Depth=1
	s_waitcnt lgkmcnt(1)
	v_add_co_u32 v13, vcc_lo, v4, v66
	v_add_co_ci_u32_e32 v5, vcc_lo, 0, v5, vcc_lo
	s_delay_alu instid0(VALU_DEP_2) | instskip(SKIP_1) | instid1(VALU_DEP_2)
	v_add_co_u32 v4, vcc_lo, 0, v13
	s_waitcnt lgkmcnt(0)
	v_add_co_ci_u32_e32 v5, vcc_lo, v14, v5, vcc_lo
.LBB27_406:                             ;   in Loop: Header=BB27_393 Depth=1
	s_or_b32 exec_lo, exec_lo, s22
	s_waitcnt lgkmcnt(0)
	ds_bpermute_b32 v14, v64, v13
	ds_bpermute_b32 v13, v64, v5
	s_mov_b32 s22, exec_lo
	v_cmpx_le_u32_e64 v65, v7
	s_cbranch_execz .LBB27_392
; %bb.407:                              ;   in Loop: Header=BB27_393 Depth=1
	s_waitcnt lgkmcnt(1)
	v_add_co_u32 v4, vcc_lo, v4, v14
	v_add_co_ci_u32_e32 v5, vcc_lo, 0, v5, vcc_lo
	s_delay_alu instid0(VALU_DEP_2) | instskip(SKIP_1) | instid1(VALU_DEP_2)
	v_add_co_u32 v4, vcc_lo, v4, 0
	s_waitcnt lgkmcnt(0)
	v_add_co_ci_u32_e32 v5, vcc_lo, v5, v13, vcc_lo
	s_branch .LBB27_392
.LBB27_408:                             ;   in Loop: Header=BB27_393 Depth=1
                                        ; implicit-def: $vgpr4_vgpr5
	s_cbranch_execz .LBB27_393
; %bb.409:
	s_and_saveexec_b32 s22, s17
	s_cbranch_execz .LBB27_411
; %bb.410:
	s_add_i32 s24, s44, 32
	s_mov_b32 s25, 0
	v_add_co_u32 v4, vcc_lo, v2, v0
	s_lshl_b64 s[24:25], s[24:25], 4
	v_dual_mov_b32 v6, 2 :: v_dual_mov_b32 v7, 0
	s_add_u32 s24, s40, s24
	s_addc_u32 s25, s41, s25
	v_add_co_ci_u32_e32 v5, vcc_lo, v3, v1, vcc_lo
	v_dual_mov_b32 v11, s24 :: v_dual_mov_b32 v12, s25
	;;#ASMSTART
	global_store_dwordx4 v[11:12], v[4:7] off	
s_waitcnt vmcnt(0)
	;;#ASMEND
	ds_store_b128 v7, v[0:3] offset:64
.LBB27_411:
	s_or_b32 exec_lo, exec_lo, s22
	s_delay_alu instid0(SALU_CYCLE_1)
	s_and_b32 exec_lo, exec_lo, s0
	s_cbranch_execz .LBB27_413
; %bb.412:
	v_mov_b32_e32 v0, 0
	ds_store_b64 v0, v[2:3] offset:56
.LBB27_413:
	s_or_b32 exec_lo, exec_lo, s21
	v_mov_b32_e32 v0, 0
	s_waitcnt lgkmcnt(0)
	s_barrier
	buffer_gl0_inv
	ds_load_b64 v[4:5], v0 offset:56
	s_waitcnt lgkmcnt(0)
	s_barrier
	buffer_gl0_inv
	ds_load_b128 v[0:3], v0 offset:64
	s_waitcnt lgkmcnt(0)
	v_cndmask_b32_e64 v1, v55, v10, s17
	s_delay_alu instid0(VALU_DEP_1) | instskip(NEXT) | instid1(VALU_DEP_1)
	v_cndmask_b32_e64 v1, v1, 0, s0
	v_add_co_u32 v4, vcc_lo, v4, v1
	s_branch .LBB27_440
.LBB27_414:
                                        ; implicit-def: $vgpr2_vgpr3
                                        ; implicit-def: $vgpr4_vgpr5
	s_cbranch_execz .LBB27_440
; %bb.415:
	v_dual_mov_b32 v2, 0 :: v_dual_and_b32 v3, 15, v54
	s_delay_alu instid0(VALU_DEP_2) | instskip(SKIP_1) | instid1(VALU_DEP_3)
	v_mov_b32_dpp v5, v8 row_shr:1 row_mask:0xf bank_mask:0xf
	v_dual_mov_b32 v0, v8 :: v_dual_mov_b32 v1, v9
	v_mov_b32_dpp v4, v2 row_shr:1 row_mask:0xf bank_mask:0xf
	s_mov_b32 s17, exec_lo
	v_cmpx_ne_u32_e32 0, v3
; %bb.416:
	v_add_co_u32 v8, s21, v5, v8
	s_delay_alu instid0(VALU_DEP_1) | instskip(NEXT) | instid1(VALU_DEP_2)
	v_add_co_ci_u32_e64 v0, null, 0, 0, s21
	v_add_co_u32 v1, vcc_lo, 0, v8
	s_delay_alu instid0(VALU_DEP_2) | instskip(NEXT) | instid1(VALU_DEP_2)
	v_add_co_ci_u32_e32 v2, vcc_lo, v4, v0, vcc_lo
	v_mov_b32_e32 v0, v1
	s_delay_alu instid0(VALU_DEP_2)
	v_mov_b32_e32 v1, v2
; %bb.417:
	s_or_b32 exec_lo, exec_lo, s17
	v_mov_b32_dpp v5, v8 row_shr:2 row_mask:0xf bank_mask:0xf
	v_mov_b32_dpp v4, v2 row_shr:2 row_mask:0xf bank_mask:0xf
	s_mov_b32 s17, exec_lo
	v_cmpx_lt_u32_e32 1, v3
; %bb.418:
	s_delay_alu instid0(VALU_DEP_3) | instskip(SKIP_1) | instid1(VALU_DEP_2)
	v_add_co_u32 v8, vcc_lo, v0, v5
	v_add_co_ci_u32_e32 v0, vcc_lo, 0, v1, vcc_lo
	v_add_co_u32 v1, vcc_lo, 0, v8
	s_delay_alu instid0(VALU_DEP_2) | instskip(NEXT) | instid1(VALU_DEP_2)
	v_add_co_ci_u32_e32 v2, vcc_lo, v4, v0, vcc_lo
	v_mov_b32_e32 v0, v1
	s_delay_alu instid0(VALU_DEP_2)
	v_mov_b32_e32 v1, v2
; %bb.419:
	s_or_b32 exec_lo, exec_lo, s17
	v_mov_b32_dpp v5, v8 row_shr:4 row_mask:0xf bank_mask:0xf
	v_mov_b32_dpp v4, v2 row_shr:4 row_mask:0xf bank_mask:0xf
	s_mov_b32 s17, exec_lo
	v_cmpx_lt_u32_e32 3, v3
; %bb.420:
	s_delay_alu instid0(VALU_DEP_3) | instskip(SKIP_1) | instid1(VALU_DEP_2)
	v_add_co_u32 v8, vcc_lo, v0, v5
	v_add_co_ci_u32_e32 v0, vcc_lo, 0, v1, vcc_lo
	;; [unrolled: 16-line block ×3, first 2 shown]
	v_add_co_u32 v0, vcc_lo, 0, v8
	s_delay_alu instid0(VALU_DEP_2) | instskip(NEXT) | instid1(VALU_DEP_1)
	v_add_co_ci_u32_e32 v1, vcc_lo, v4, v1, vcc_lo
	v_mov_b32_e32 v2, v1
; %bb.423:
	s_or_b32 exec_lo, exec_lo, s17
	ds_swizzle_b32 v3, v8 offset:swizzle(BROADCAST,32,15)
	ds_swizzle_b32 v2, v2 offset:swizzle(BROADCAST,32,15)
	v_and_b32_e32 v4, 16, v54
	s_mov_b32 s17, exec_lo
	s_delay_alu instid0(VALU_DEP_1)
	v_cmpx_ne_u32_e32 0, v4
	s_cbranch_execz .LBB27_425
; %bb.424:
	s_waitcnt lgkmcnt(1)
	v_add_co_u32 v8, vcc_lo, v0, v3
	v_add_co_ci_u32_e32 v1, vcc_lo, 0, v1, vcc_lo
	s_delay_alu instid0(VALU_DEP_2) | instskip(SKIP_1) | instid1(VALU_DEP_2)
	v_add_co_u32 v0, vcc_lo, 0, v8
	s_waitcnt lgkmcnt(0)
	v_add_co_ci_u32_e32 v1, vcc_lo, v2, v1, vcc_lo
.LBB27_425:
	s_or_b32 exec_lo, exec_lo, s17
	s_waitcnt lgkmcnt(0)
	v_and_b32_e32 v2, 0x3e0, v16
	v_lshrrev_b32_e32 v4, 5, v16
	s_mov_b32 s17, exec_lo
	s_delay_alu instid0(VALU_DEP_2) | instskip(NEXT) | instid1(VALU_DEP_1)
	v_min_u32_e32 v2, 0xe0, v2
	v_or_b32_e32 v2, 31, v2
	s_delay_alu instid0(VALU_DEP_1)
	v_cmpx_eq_u32_e64 v2, v16
	s_cbranch_execz .LBB27_427
; %bb.426:
	v_lshlrev_b32_e32 v2, 3, v4
	ds_store_b64 v2, v[0:1]
.LBB27_427:
	s_or_b32 exec_lo, exec_lo, s17
	s_delay_alu instid0(SALU_CYCLE_1)
	s_mov_b32 s17, exec_lo
	s_waitcnt lgkmcnt(0)
	s_barrier
	buffer_gl0_inv
	v_cmpx_gt_u32_e32 8, v16
	s_cbranch_execz .LBB27_435
; %bb.428:
	v_lshlrev_b32_e32 v2, 3, v16
	v_and_b32_e32 v3, 7, v54
	s_mov_b32 s21, exec_lo
	ds_load_b64 v[0:1], v2
	s_waitcnt lgkmcnt(0)
	v_mov_b32_e32 v5, v0
	v_mov_b32_dpp v7, v0 row_shr:1 row_mask:0xf bank_mask:0xf
	v_mov_b32_dpp v6, v1 row_shr:1 row_mask:0xf bank_mask:0xf
	v_cmpx_ne_u32_e32 0, v3
; %bb.429:
	s_delay_alu instid0(VALU_DEP_3) | instskip(SKIP_1) | instid1(VALU_DEP_2)
	v_add_co_u32 v5, vcc_lo, v0, v7
	v_add_co_ci_u32_e32 v1, vcc_lo, 0, v1, vcc_lo
	v_add_co_u32 v0, vcc_lo, 0, v5
	s_delay_alu instid0(VALU_DEP_2)
	v_add_co_ci_u32_e32 v1, vcc_lo, v6, v1, vcc_lo
; %bb.430:
	s_or_b32 exec_lo, exec_lo, s21
	v_mov_b32_dpp v7, v5 row_shr:2 row_mask:0xf bank_mask:0xf
	s_delay_alu instid0(VALU_DEP_2)
	v_mov_b32_dpp v6, v1 row_shr:2 row_mask:0xf bank_mask:0xf
	s_mov_b32 s21, exec_lo
	v_cmpx_lt_u32_e32 1, v3
; %bb.431:
	s_delay_alu instid0(VALU_DEP_3) | instskip(SKIP_1) | instid1(VALU_DEP_2)
	v_add_co_u32 v5, vcc_lo, v0, v7
	v_add_co_ci_u32_e32 v1, vcc_lo, 0, v1, vcc_lo
	v_add_co_u32 v0, vcc_lo, 0, v5
	s_delay_alu instid0(VALU_DEP_2)
	v_add_co_ci_u32_e32 v1, vcc_lo, v6, v1, vcc_lo
; %bb.432:
	s_or_b32 exec_lo, exec_lo, s21
	v_mov_b32_dpp v6, v5 row_shr:4 row_mask:0xf bank_mask:0xf
	s_delay_alu instid0(VALU_DEP_2)
	v_mov_b32_dpp v5, v1 row_shr:4 row_mask:0xf bank_mask:0xf
	s_mov_b32 s21, exec_lo
	v_cmpx_lt_u32_e32 3, v3
; %bb.433:
	s_delay_alu instid0(VALU_DEP_3) | instskip(SKIP_1) | instid1(VALU_DEP_2)
	v_add_co_u32 v0, vcc_lo, v0, v6
	v_add_co_ci_u32_e32 v1, vcc_lo, 0, v1, vcc_lo
	v_add_co_u32 v0, vcc_lo, v0, 0
	s_delay_alu instid0(VALU_DEP_2)
	v_add_co_ci_u32_e32 v1, vcc_lo, v1, v5, vcc_lo
; %bb.434:
	s_or_b32 exec_lo, exec_lo, s21
	ds_store_b64 v2, v[0:1]
.LBB27_435:
	s_or_b32 exec_lo, exec_lo, s17
	s_delay_alu instid0(SALU_CYCLE_1)
	s_mov_b32 s17, exec_lo
	v_mov_b32_e32 v2, 0
	v_mov_b32_e32 v3, 0
	s_waitcnt lgkmcnt(0)
	s_barrier
	buffer_gl0_inv
	v_cmpx_lt_u32_e32 31, v16
	s_cbranch_execz .LBB27_437
; %bb.436:
	v_lshl_add_u32 v0, v4, 3, -8
	ds_load_b64 v[2:3], v0
.LBB27_437:
	s_or_b32 exec_lo, exec_lo, s17
	s_waitcnt lgkmcnt(0)
	v_dual_mov_b32 v3, 0 :: v_dual_add_nc_u32 v0, -1, v54
	v_add_nc_u32_e32 v1, v8, v2
	s_delay_alu instid0(VALU_DEP_2) | instskip(SKIP_2) | instid1(VALU_DEP_2)
	v_cmp_gt_i32_e32 vcc_lo, 0, v0
	v_cndmask_b32_e32 v0, v0, v54, vcc_lo
	v_cmp_eq_u32_e32 vcc_lo, 0, v54
	v_lshlrev_b32_e32 v0, 2, v0
	ds_bpermute_b32 v4, v0, v1
	ds_load_b64 v[0:1], v3 offset:56
	s_waitcnt lgkmcnt(1)
	v_cndmask_b32_e32 v4, v4, v2, vcc_lo
	s_and_saveexec_b32 s17, s0
	s_cbranch_execz .LBB27_439
; %bb.438:
	s_add_u32 s22, s40, 0x200
	s_addc_u32 s23, s41, 0
	v_dual_mov_b32 v2, 2 :: v_dual_mov_b32 v5, s22
	v_mov_b32_e32 v6, s23
	s_waitcnt lgkmcnt(0)
	;;#ASMSTART
	global_store_dwordx4 v[5:6], v[0:3] off	
s_waitcnt vmcnt(0)
	;;#ASMEND
.LBB27_439:
	s_or_b32 exec_lo, exec_lo, s17
	v_mov_b32_e32 v2, 0
	v_mov_b32_e32 v3, 0
.LBB27_440:
	s_waitcnt lgkmcnt(0)
	s_delay_alu instid0(VALU_DEP_1)
	v_sub_nc_u32_e32 v1, v4, v2
	s_barrier
	buffer_gl0_inv
	s_and_saveexec_b32 s0, s38
	s_cbranch_execnz .LBB27_471
; %bb.441:
	s_or_b32 exec_lo, exec_lo, s0
	s_and_saveexec_b32 s0, s37
	s_cbranch_execnz .LBB27_472
.LBB27_442:
	s_or_b32 exec_lo, exec_lo, s0
	s_and_saveexec_b32 s0, s36
	s_cbranch_execnz .LBB27_473
.LBB27_443:
	s_or_b32 exec_lo, exec_lo, s0
	s_and_saveexec_b32 s0, s20
	s_cbranch_execnz .LBB27_474
.LBB27_444:
	s_or_b32 exec_lo, exec_lo, s0
	s_and_saveexec_b32 s0, s19
	s_cbranch_execnz .LBB27_475
.LBB27_445:
	s_or_b32 exec_lo, exec_lo, s0
	s_and_saveexec_b32 s0, s18
	s_cbranch_execz .LBB27_447
.LBB27_446:
	v_cndmask_b32_e64 v4, v27, v26, s6
	v_lshlrev_b32_e32 v5, 2, v1
	v_add_nc_u32_e32 v1, 1, v1
	ds_store_b32 v5, v4 offset:1024
.LBB27_447:
	s_or_b32 exec_lo, exec_lo, s0
	v_and_b32_e32 v4, 64, v53
	s_mov_b32 s0, exec_lo
	s_delay_alu instid0(VALU_DEP_1)
	v_cmpx_ne_u32_e32 0, v4
	s_cbranch_execz .LBB27_449
; %bb.448:
	v_cndmask_b32_e64 v4, v29, v28, s7
	v_lshlrev_b32_e32 v5, 2, v1
	v_add_nc_u32_e32 v1, 1, v1
	ds_store_b32 v5, v4 offset:1024
.LBB27_449:
	s_or_b32 exec_lo, exec_lo, s0
	v_and_b32_e32 v4, 0x80, v52
	s_mov_b32 s0, exec_lo
	s_delay_alu instid0(VALU_DEP_1)
	v_cmpx_ne_u32_e32 0, v4
	s_cbranch_execz .LBB27_451
; %bb.450:
	v_cndmask_b32_e64 v4, v31, v30, s8
	v_lshlrev_b32_e32 v5, 2, v1
	v_add_nc_u32_e32 v1, 1, v1
	ds_store_b32 v5, v4 offset:1024
.LBB27_451:
	;; [unrolled: 12-line block ×9, first 2 shown]
	s_or_b32 exec_lo, exec_lo, s0
	v_and_b32_e32 v4, 0x8000, v48
	s_mov_b32 s0, exec_lo
	s_delay_alu instid0(VALU_DEP_1)
	v_cmpx_ne_u32_e32 0, v4
	s_cbranch_execz .LBB27_467
; %bb.466:
	v_cndmask_b32_e64 v4, v47, v46, s16
	v_lshlrev_b32_e32 v1, 2, v1
	ds_store_b32 v1, v4 offset:1024
.LBB27_467:
	s_or_b32 exec_lo, exec_lo, s0
	s_waitcnt lgkmcnt(0)
	s_barrier
	buffer_gl0_inv
	s_mov_b32 s0, exec_lo
	v_cmpx_lt_i32_e64 v16, v0
	s_cbranch_execz .LBB27_470
; %bb.468:
	v_lshlrev_b64 v[1:2], 2, v[2:3]
	v_lshlrev_b32_e32 v4, 2, v16
	v_lshl_add_u32 v3, v16, 2, 0x400
	s_mov_b32 s1, 0
	s_delay_alu instid0(VALU_DEP_3) | instskip(NEXT) | instid1(VALU_DEP_4)
	v_add_co_u32 v1, vcc_lo, s42, v1
	v_add_co_ci_u32_e32 v2, vcc_lo, s43, v2, vcc_lo
	s_delay_alu instid0(VALU_DEP_2) | instskip(NEXT) | instid1(VALU_DEP_2)
	v_add_co_u32 v1, vcc_lo, v1, v4
	v_add_co_ci_u32_e32 v2, vcc_lo, 0, v2, vcc_lo
	.p2align	6
.LBB27_469:                             ; =>This Inner Loop Header: Depth=1
	ds_load_b32 v4, v3
	v_add_nc_u32_e32 v16, 0x100, v16
	v_add_nc_u32_e32 v3, 0x400, v3
	s_delay_alu instid0(VALU_DEP_2) | instskip(SKIP_4) | instid1(VALU_DEP_1)
	v_cmp_ge_i32_e32 vcc_lo, v16, v0
	s_or_b32 s1, vcc_lo, s1
	s_waitcnt lgkmcnt(0)
	global_store_b32 v[1:2], v4, off
	v_add_co_u32 v1, s0, 0x400, v1
	v_add_co_ci_u32_e64 v2, s0, 0, v2, s0
	s_and_not1_b32 exec_lo, exec_lo, s1
	s_cbranch_execnz .LBB27_469
.LBB27_470:
	s_nop 0
	s_sendmsg sendmsg(MSG_DEALLOC_VGPRS)
	s_endpgm
.LBB27_471:
	v_add_nc_u32_e32 v4, 1, v1
	v_cndmask_b32_e64 v5, v17, v15, s1
	s_delay_alu instid0(VALU_DEP_2)
	v_dual_mov_b32 v1, v4 :: v_dual_lshlrev_b32 v6, 2, v1
	ds_store_b32 v6, v5 offset:1024
	s_or_b32 exec_lo, exec_lo, s0
	s_and_saveexec_b32 s0, s37
	s_cbranch_execz .LBB27_442
.LBB27_472:
	v_cndmask_b32_e64 v4, v19, v18, s2
	v_lshlrev_b32_e32 v5, 2, v1
	v_add_nc_u32_e32 v1, 1, v1
	ds_store_b32 v5, v4 offset:1024
	s_or_b32 exec_lo, exec_lo, s0
	s_and_saveexec_b32 s0, s36
	s_cbranch_execz .LBB27_443
.LBB27_473:
	v_cndmask_b32_e64 v4, v21, v20, s3
	v_lshlrev_b32_e32 v5, 2, v1
	v_add_nc_u32_e32 v1, 1, v1
	ds_store_b32 v5, v4 offset:1024
	s_or_b32 exec_lo, exec_lo, s0
	s_and_saveexec_b32 s0, s20
	s_cbranch_execz .LBB27_444
.LBB27_474:
	v_cndmask_b32_e64 v4, v23, v22, s4
	v_lshlrev_b32_e32 v5, 2, v1
	v_add_nc_u32_e32 v1, 1, v1
	ds_store_b32 v5, v4 offset:1024
	s_or_b32 exec_lo, exec_lo, s0
	s_and_saveexec_b32 s0, s19
	s_cbranch_execz .LBB27_445
.LBB27_475:
	v_cndmask_b32_e64 v4, v25, v24, s5
	v_lshlrev_b32_e32 v5, 2, v1
	v_add_nc_u32_e32 v1, 1, v1
	ds_store_b32 v5, v4 offset:1024
	s_or_b32 exec_lo, exec_lo, s0
	s_and_saveexec_b32 s0, s18
	s_cbranch_execnz .LBB27_446
	s_branch .LBB27_447
	.section	.rodata,"a",@progbits
	.p2align	6, 0x0
	.amdhsa_kernel _ZN6thrust23THRUST_200600_302600_NS11hip_rocprim16__set_operations22lookback_set_op_kernelIN7rocprim17ROCPRIM_400000_NS13kernel_configILj256ELj16ELj4294967295EEELb0ENS0_6detail15normal_iteratorINS0_10device_ptrIKiEEEESD_PiSE_lNS9_INSA_IiEEEESE_NS0_4lessIiEENS2_31serial_set_symmetric_differenceENS5_6detail19lookback_scan_stateIlLb0ELb1EEEEEvT1_T2_T3_T4_T6_T7_T8_T9_PNS0_4pairIT5_SW_EEPSW_T10_NSK_16ordered_block_idIjEE
		.amdhsa_group_segment_fixed_size 36868
		.amdhsa_private_segment_fixed_size 0
		.amdhsa_kernarg_size 344
		.amdhsa_user_sgpr_count 15
		.amdhsa_user_sgpr_dispatch_ptr 0
		.amdhsa_user_sgpr_queue_ptr 0
		.amdhsa_user_sgpr_kernarg_segment_ptr 1
		.amdhsa_user_sgpr_dispatch_id 0
		.amdhsa_user_sgpr_private_segment_size 0
		.amdhsa_wavefront_size32 1
		.amdhsa_uses_dynamic_stack 0
		.amdhsa_enable_private_segment 0
		.amdhsa_system_sgpr_workgroup_id_x 1
		.amdhsa_system_sgpr_workgroup_id_y 0
		.amdhsa_system_sgpr_workgroup_id_z 0
		.amdhsa_system_sgpr_workgroup_info 0
		.amdhsa_system_vgpr_workitem_id 2
		.amdhsa_next_free_vgpr 74
		.amdhsa_next_free_sgpr 58
		.amdhsa_reserve_vcc 1
		.amdhsa_float_round_mode_32 0
		.amdhsa_float_round_mode_16_64 0
		.amdhsa_float_denorm_mode_32 3
		.amdhsa_float_denorm_mode_16_64 3
		.amdhsa_dx10_clamp 1
		.amdhsa_ieee_mode 1
		.amdhsa_fp16_overflow 0
		.amdhsa_workgroup_processor_mode 1
		.amdhsa_memory_ordered 1
		.amdhsa_forward_progress 0
		.amdhsa_shared_vgpr_count 0
		.amdhsa_exception_fp_ieee_invalid_op 0
		.amdhsa_exception_fp_denorm_src 0
		.amdhsa_exception_fp_ieee_div_zero 0
		.amdhsa_exception_fp_ieee_overflow 0
		.amdhsa_exception_fp_ieee_underflow 0
		.amdhsa_exception_fp_ieee_inexact 0
		.amdhsa_exception_int_div_zero 0
	.end_amdhsa_kernel
	.section	.text._ZN6thrust23THRUST_200600_302600_NS11hip_rocprim16__set_operations22lookback_set_op_kernelIN7rocprim17ROCPRIM_400000_NS13kernel_configILj256ELj16ELj4294967295EEELb0ENS0_6detail15normal_iteratorINS0_10device_ptrIKiEEEESD_PiSE_lNS9_INSA_IiEEEESE_NS0_4lessIiEENS2_31serial_set_symmetric_differenceENS5_6detail19lookback_scan_stateIlLb0ELb1EEEEEvT1_T2_T3_T4_T6_T7_T8_T9_PNS0_4pairIT5_SW_EEPSW_T10_NSK_16ordered_block_idIjEE,"axG",@progbits,_ZN6thrust23THRUST_200600_302600_NS11hip_rocprim16__set_operations22lookback_set_op_kernelIN7rocprim17ROCPRIM_400000_NS13kernel_configILj256ELj16ELj4294967295EEELb0ENS0_6detail15normal_iteratorINS0_10device_ptrIKiEEEESD_PiSE_lNS9_INSA_IiEEEESE_NS0_4lessIiEENS2_31serial_set_symmetric_differenceENS5_6detail19lookback_scan_stateIlLb0ELb1EEEEEvT1_T2_T3_T4_T6_T7_T8_T9_PNS0_4pairIT5_SW_EEPSW_T10_NSK_16ordered_block_idIjEE,comdat
.Lfunc_end27:
	.size	_ZN6thrust23THRUST_200600_302600_NS11hip_rocprim16__set_operations22lookback_set_op_kernelIN7rocprim17ROCPRIM_400000_NS13kernel_configILj256ELj16ELj4294967295EEELb0ENS0_6detail15normal_iteratorINS0_10device_ptrIKiEEEESD_PiSE_lNS9_INSA_IiEEEESE_NS0_4lessIiEENS2_31serial_set_symmetric_differenceENS5_6detail19lookback_scan_stateIlLb0ELb1EEEEEvT1_T2_T3_T4_T6_T7_T8_T9_PNS0_4pairIT5_SW_EEPSW_T10_NSK_16ordered_block_idIjEE, .Lfunc_end27-_ZN6thrust23THRUST_200600_302600_NS11hip_rocprim16__set_operations22lookback_set_op_kernelIN7rocprim17ROCPRIM_400000_NS13kernel_configILj256ELj16ELj4294967295EEELb0ENS0_6detail15normal_iteratorINS0_10device_ptrIKiEEEESD_PiSE_lNS9_INSA_IiEEEESE_NS0_4lessIiEENS2_31serial_set_symmetric_differenceENS5_6detail19lookback_scan_stateIlLb0ELb1EEEEEvT1_T2_T3_T4_T6_T7_T8_T9_PNS0_4pairIT5_SW_EEPSW_T10_NSK_16ordered_block_idIjEE
                                        ; -- End function
	.section	.AMDGPU.csdata,"",@progbits
; Kernel info:
; codeLenInByte = 23544
; NumSgprs: 60
; NumVgprs: 74
; ScratchSize: 0
; MemoryBound: 0
; FloatMode: 240
; IeeeMode: 1
; LDSByteSize: 36868 bytes/workgroup (compile time only)
; SGPRBlocks: 7
; VGPRBlocks: 9
; NumSGPRsForWavesPerEU: 60
; NumVGPRsForWavesPerEU: 74
; Occupancy: 6
; WaveLimiterHint : 1
; COMPUTE_PGM_RSRC2:SCRATCH_EN: 0
; COMPUTE_PGM_RSRC2:USER_SGPR: 15
; COMPUTE_PGM_RSRC2:TRAP_HANDLER: 0
; COMPUTE_PGM_RSRC2:TGID_X_EN: 1
; COMPUTE_PGM_RSRC2:TGID_Y_EN: 0
; COMPUTE_PGM_RSRC2:TGID_Z_EN: 0
; COMPUTE_PGM_RSRC2:TIDIG_COMP_CNT: 2
	.section	.text._ZN6thrust23THRUST_200600_302600_NS11hip_rocprim14__parallel_for6kernelILj256EZNS1_16__set_operations9doit_stepILb0ENS0_6detail15normal_iteratorINS0_10device_ptrIKiEEEESB_PiSC_lNS0_16discard_iteratorINS0_11use_defaultEEESC_NS0_4lessIiEENS4_23serial_set_intersectionEEE10hipError_tPvRmT0_T1_T2_T3_T4_SQ_T5_T6_PSQ_T7_T8_P12ihipStream_tbEUllE_jLj1EEEvSM_SN_SN_,"axG",@progbits,_ZN6thrust23THRUST_200600_302600_NS11hip_rocprim14__parallel_for6kernelILj256EZNS1_16__set_operations9doit_stepILb0ENS0_6detail15normal_iteratorINS0_10device_ptrIKiEEEESB_PiSC_lNS0_16discard_iteratorINS0_11use_defaultEEESC_NS0_4lessIiEENS4_23serial_set_intersectionEEE10hipError_tPvRmT0_T1_T2_T3_T4_SQ_T5_T6_PSQ_T7_T8_P12ihipStream_tbEUllE_jLj1EEEvSM_SN_SN_,comdat
	.protected	_ZN6thrust23THRUST_200600_302600_NS11hip_rocprim14__parallel_for6kernelILj256EZNS1_16__set_operations9doit_stepILb0ENS0_6detail15normal_iteratorINS0_10device_ptrIKiEEEESB_PiSC_lNS0_16discard_iteratorINS0_11use_defaultEEESC_NS0_4lessIiEENS4_23serial_set_intersectionEEE10hipError_tPvRmT0_T1_T2_T3_T4_SQ_T5_T6_PSQ_T7_T8_P12ihipStream_tbEUllE_jLj1EEEvSM_SN_SN_ ; -- Begin function _ZN6thrust23THRUST_200600_302600_NS11hip_rocprim14__parallel_for6kernelILj256EZNS1_16__set_operations9doit_stepILb0ENS0_6detail15normal_iteratorINS0_10device_ptrIKiEEEESB_PiSC_lNS0_16discard_iteratorINS0_11use_defaultEEESC_NS0_4lessIiEENS4_23serial_set_intersectionEEE10hipError_tPvRmT0_T1_T2_T3_T4_SQ_T5_T6_PSQ_T7_T8_P12ihipStream_tbEUllE_jLj1EEEvSM_SN_SN_
	.globl	_ZN6thrust23THRUST_200600_302600_NS11hip_rocprim14__parallel_for6kernelILj256EZNS1_16__set_operations9doit_stepILb0ENS0_6detail15normal_iteratorINS0_10device_ptrIKiEEEESB_PiSC_lNS0_16discard_iteratorINS0_11use_defaultEEESC_NS0_4lessIiEENS4_23serial_set_intersectionEEE10hipError_tPvRmT0_T1_T2_T3_T4_SQ_T5_T6_PSQ_T7_T8_P12ihipStream_tbEUllE_jLj1EEEvSM_SN_SN_
	.p2align	8
	.type	_ZN6thrust23THRUST_200600_302600_NS11hip_rocprim14__parallel_for6kernelILj256EZNS1_16__set_operations9doit_stepILb0ENS0_6detail15normal_iteratorINS0_10device_ptrIKiEEEESB_PiSC_lNS0_16discard_iteratorINS0_11use_defaultEEESC_NS0_4lessIiEENS4_23serial_set_intersectionEEE10hipError_tPvRmT0_T1_T2_T3_T4_SQ_T5_T6_PSQ_T7_T8_P12ihipStream_tbEUllE_jLj1EEEvSM_SN_SN_,@function
_ZN6thrust23THRUST_200600_302600_NS11hip_rocprim14__parallel_for6kernelILj256EZNS1_16__set_operations9doit_stepILb0ENS0_6detail15normal_iteratorINS0_10device_ptrIKiEEEESB_PiSC_lNS0_16discard_iteratorINS0_11use_defaultEEESC_NS0_4lessIiEENS4_23serial_set_intersectionEEE10hipError_tPvRmT0_T1_T2_T3_T4_SQ_T5_T6_PSQ_T7_T8_P12ihipStream_tbEUllE_jLj1EEEvSM_SN_SN_: ; @_ZN6thrust23THRUST_200600_302600_NS11hip_rocprim14__parallel_for6kernelILj256EZNS1_16__set_operations9doit_stepILb0ENS0_6detail15normal_iteratorINS0_10device_ptrIKiEEEESB_PiSC_lNS0_16discard_iteratorINS0_11use_defaultEEESC_NS0_4lessIiEENS4_23serial_set_intersectionEEE10hipError_tPvRmT0_T1_T2_T3_T4_SQ_T5_T6_PSQ_T7_T8_P12ihipStream_tbEUllE_jLj1EEEvSM_SN_SN_
; %bb.0:
	s_clause 0x2
	s_load_b64 s[12:13], s[0:1], 0x30
	s_load_b64 s[2:3], s[0:1], 0x20
	s_load_b256 s[4:11], s[0:1], 0x0
	s_lshl_b32 s1, s15, 8
	s_waitcnt lgkmcnt(0)
	s_add_i32 s1, s1, s13
	s_delay_alu instid0(SALU_CYCLE_1) | instskip(NEXT) | instid1(SALU_CYCLE_1)
	s_sub_i32 s0, s12, s1
	s_cmpk_lt_u32 s0, 0x100
	s_cbranch_scc0 .LBB28_12
; %bb.1:
	v_cmp_gt_u32_e32 vcc_lo, s0, v0
	s_mov_b32 s12, 0
	s_mov_b32 s0, 0
                                        ; implicit-def: $vgpr3_vgpr4
                                        ; implicit-def: $vgpr5_vgpr6
	s_and_saveexec_b32 s13, vcc_lo
	s_cbranch_execz .LBB28_13
; %bb.2:
	v_add_nc_u32_e32 v5, s1, v0
	s_add_u32 s14, s6, s4
	s_addc_u32 s15, s7, s5
	v_mov_b32_e32 v6, 0
	s_delay_alu instid0(VALU_DEP_2) | instskip(NEXT) | instid1(VALU_DEP_1)
	v_mad_u64_u32 v[1:2], null, 0xfff, v5, 0
	v_cmp_lt_i64_e32 vcc_lo, s[14:15], v[1:2]
	v_cndmask_b32_e64 v3, v1, s14, vcc_lo
	v_cndmask_b32_e64 v4, v2, s15, vcc_lo
	s_mov_b32 s14, 0
	s_delay_alu instid0(VALU_DEP_2) | instskip(NEXT) | instid1(VALU_DEP_2)
	v_sub_co_u32 v1, vcc_lo, v3, s6
	v_subrev_co_ci_u32_e32 v2, vcc_lo, s7, v4, vcc_lo
	v_cmp_lt_i64_e64 s0, s[4:5], v[3:4]
	s_delay_alu instid0(VALU_DEP_2) | instskip(NEXT) | instid1(VALU_DEP_2)
	v_cmp_lt_i64_e32 vcc_lo, 0, v[1:2]
	v_cndmask_b32_e64 v8, v4, s5, s0
	v_cndmask_b32_e64 v7, v3, s4, s0
	s_mov_b32 s0, exec_lo
	v_dual_cndmask_b32 v2, 0, v2 :: v_dual_cndmask_b32 v1, 0, v1
	s_delay_alu instid0(VALU_DEP_1)
	v_cmpx_lt_i64_e64 v[1:2], v[7:8]
	s_cbranch_execz .LBB28_6
; %bb.3:
	v_lshlrev_b64 v[9:10], 2, v[3:4]
	s_delay_alu instid0(VALU_DEP_1) | instskip(NEXT) | instid1(VALU_DEP_2)
	v_add_co_u32 v9, vcc_lo, s2, v9
	v_add_co_ci_u32_e32 v10, vcc_lo, s3, v10, vcc_lo
	s_set_inst_prefetch_distance 0x1
	.p2align	6
.LBB28_4:                               ; =>This Inner Loop Header: Depth=1
	v_add_co_u32 v11, vcc_lo, v7, v1
	v_add_co_ci_u32_e32 v12, vcc_lo, v8, v2, vcc_lo
	s_delay_alu instid0(VALU_DEP_1) | instskip(NEXT) | instid1(VALU_DEP_1)
	v_ashrrev_i64 v[11:12], 1, v[11:12]
	v_not_b32_e32 v14, v12
	s_delay_alu instid0(VALU_DEP_2) | instskip(SKIP_1) | instid1(VALU_DEP_2)
	v_not_b32_e32 v13, v11
	v_lshlrev_b64 v[15:16], 2, v[11:12]
	v_lshlrev_b64 v[13:14], 2, v[13:14]
	s_delay_alu instid0(VALU_DEP_2) | instskip(NEXT) | instid1(VALU_DEP_3)
	v_add_co_u32 v15, vcc_lo, s10, v15
	v_add_co_ci_u32_e32 v16, vcc_lo, s11, v16, vcc_lo
	s_delay_alu instid0(VALU_DEP_3) | instskip(NEXT) | instid1(VALU_DEP_4)
	v_add_co_u32 v13, vcc_lo, v9, v13
	v_add_co_ci_u32_e32 v14, vcc_lo, v10, v14, vcc_lo
	global_load_b32 v15, v[15:16], off
	global_load_b32 v13, v[13:14], off
	v_add_co_u32 v14, vcc_lo, v11, 1
	v_add_co_ci_u32_e32 v16, vcc_lo, 0, v12, vcc_lo
	s_waitcnt vmcnt(0)
	v_cmp_lt_i32_e32 vcc_lo, v13, v15
	v_dual_cndmask_b32 v8, v8, v12 :: v_dual_cndmask_b32 v7, v7, v11
	s_delay_alu instid0(VALU_DEP_3) | instskip(NEXT) | instid1(VALU_DEP_1)
	v_dual_cndmask_b32 v2, v16, v2 :: v_dual_cndmask_b32 v1, v14, v1
	v_cmp_ge_i64_e32 vcc_lo, v[1:2], v[7:8]
	s_or_b32 s14, vcc_lo, s14
	s_delay_alu instid0(SALU_CYCLE_1)
	s_and_not1_b32 exec_lo, exec_lo, s14
	s_cbranch_execnz .LBB28_4
; %bb.5:
	s_set_inst_prefetch_distance 0x2
	s_or_b32 exec_lo, exec_lo, s14
.LBB28_6:
	s_delay_alu instid0(SALU_CYCLE_1)
	s_or_b32 exec_lo, exec_lo, s0
	v_sub_co_u32 v11, vcc_lo, v3, v1
	v_mov_b32_e32 v9, 0
	v_sub_co_ci_u32_e32 v12, vcc_lo, v4, v2, vcc_lo
	v_mov_b32_e32 v10, 0
	s_mov_b32 s14, exec_lo
	s_delay_alu instid0(VALU_DEP_2)
	v_cmpx_gt_i64_e64 s[6:7], v[11:12]
	s_cbranch_execz .LBB28_38
; %bb.7:
	v_lshlrev_b64 v[7:8], 2, v[11:12]
	s_mov_b32 s0, exec_lo
	v_dual_mov_b32 v14, v2 :: v_dual_mov_b32 v13, v1
	s_delay_alu instid0(VALU_DEP_2) | instskip(NEXT) | instid1(VALU_DEP_3)
	v_add_co_u32 v9, vcc_lo, s2, v7
	v_add_co_ci_u32_e32 v10, vcc_lo, s3, v8, vcc_lo
	v_mov_b32_e32 v7, 0
	v_mov_b32_e32 v8, 0
	global_load_b32 v19, v[9:10], off
	v_cmpx_lt_i64_e32 0, v[1:2]
	s_cbranch_execnz .LBB28_14
; %bb.8:
	s_or_b32 exec_lo, exec_lo, s0
	s_delay_alu instid0(SALU_CYCLE_1)
	s_mov_b32 s0, exec_lo
	v_cmpx_lt_i64_e64 v[7:8], v[13:14]
	s_cbranch_execnz .LBB28_15
.LBB28_9:
	s_or_b32 exec_lo, exec_lo, s0
	s_delay_alu instid0(SALU_CYCLE_1)
	s_mov_b32 s0, exec_lo
	v_cmpx_lt_i64_e64 v[7:8], v[13:14]
	s_cbranch_execnz .LBB28_16
.LBB28_10:
	s_or_b32 exec_lo, exec_lo, s0
	s_delay_alu instid0(SALU_CYCLE_1)
	s_mov_b32 s0, exec_lo
	v_cmpx_lt_i64_e64 v[7:8], v[13:14]
	s_cbranch_execnz .LBB28_17
.LBB28_11:
	s_or_b32 exec_lo, exec_lo, s0
	s_delay_alu instid0(SALU_CYCLE_1)
	s_mov_b32 s0, exec_lo
	v_cmpx_lt_i64_e64 v[7:8], v[13:14]
	s_cbranch_execnz .LBB28_18
	s_branch .LBB28_21
.LBB28_12:
	s_mov_b32 s0, 0
                                        ; implicit-def: $vgpr3_vgpr4
                                        ; implicit-def: $vgpr5_vgpr6
	s_cbranch_execnz .LBB28_39
	s_branch .LBB28_74
.LBB28_13:
	s_or_b32 exec_lo, exec_lo, s13
	s_delay_alu instid0(SALU_CYCLE_1)
	s_and_b32 vcc_lo, exec_lo, s12
	s_cbranch_vccnz .LBB28_39
	s_branch .LBB28_74
.LBB28_14:
	v_mad_u64_u32 v[7:8], null, 0x1ff, v1, 0
	s_delay_alu instid0(VALU_DEP_1) | instskip(NEXT) | instid1(VALU_DEP_1)
	v_mad_u64_u32 v[13:14], null, 0x1ff, v2, v[8:9]
	v_mov_b32_e32 v8, v13
	s_delay_alu instid0(VALU_DEP_1) | instskip(NEXT) | instid1(VALU_DEP_1)
	v_lshrrev_b64 v[13:14], 9, v[7:8]
	v_lshlrev_b64 v[7:8], 2, v[13:14]
	s_delay_alu instid0(VALU_DEP_1) | instskip(NEXT) | instid1(VALU_DEP_2)
	v_add_co_u32 v7, vcc_lo, s10, v7
	v_add_co_ci_u32_e32 v8, vcc_lo, s11, v8, vcc_lo
	v_add_co_u32 v15, vcc_lo, v13, 1
	global_load_b32 v7, v[7:8], off
	v_add_co_ci_u32_e32 v8, vcc_lo, 0, v14, vcc_lo
	s_waitcnt vmcnt(0)
	v_cmp_lt_i32_e32 vcc_lo, v7, v19
	s_delay_alu instid0(VALU_DEP_2) | instskip(SKIP_2) | instid1(SALU_CYCLE_1)
	v_dual_cndmask_b32 v7, 0, v15 :: v_dual_cndmask_b32 v8, 0, v8
	v_dual_cndmask_b32 v13, v13, v1 :: v_dual_cndmask_b32 v14, v14, v2
	s_or_b32 exec_lo, exec_lo, s0
	s_mov_b32 s0, exec_lo
	s_delay_alu instid0(VALU_DEP_1)
	v_cmpx_lt_i64_e64 v[7:8], v[13:14]
	s_cbranch_execz .LBB28_9
.LBB28_15:
	v_mad_u64_u32 v[15:16], null, 0x7f, v13, v[7:8]
	s_delay_alu instid0(VALU_DEP_1) | instskip(NEXT) | instid1(VALU_DEP_1)
	v_mad_u64_u32 v[17:18], null, 0x7f, v14, v[16:17]
	v_mov_b32_e32 v16, v17
	s_delay_alu instid0(VALU_DEP_1) | instskip(NEXT) | instid1(VALU_DEP_1)
	v_lshrrev_b64 v[15:16], 7, v[15:16]
	v_lshlrev_b64 v[17:18], 2, v[15:16]
	s_delay_alu instid0(VALU_DEP_1) | instskip(NEXT) | instid1(VALU_DEP_2)
	v_add_co_u32 v17, vcc_lo, s10, v17
	v_add_co_ci_u32_e32 v18, vcc_lo, s11, v18, vcc_lo
	global_load_b32 v17, v[17:18], off
	v_add_co_u32 v18, vcc_lo, v15, 1
	v_add_co_ci_u32_e32 v20, vcc_lo, 0, v16, vcc_lo
	s_waitcnt vmcnt(0)
	v_cmp_lt_i32_e32 vcc_lo, v17, v19
	s_delay_alu instid0(VALU_DEP_2) | instskip(SKIP_2) | instid1(SALU_CYCLE_1)
	v_dual_cndmask_b32 v7, v7, v18 :: v_dual_cndmask_b32 v8, v8, v20
	v_dual_cndmask_b32 v13, v15, v13 :: v_dual_cndmask_b32 v14, v16, v14
	s_or_b32 exec_lo, exec_lo, s0
	s_mov_b32 s0, exec_lo
	s_delay_alu instid0(VALU_DEP_1)
	v_cmpx_lt_i64_e64 v[7:8], v[13:14]
	s_cbranch_execz .LBB28_10
.LBB28_16:
	v_mad_u64_u32 v[15:16], null, v13, 31, v[7:8]
	s_delay_alu instid0(VALU_DEP_1) | instskip(NEXT) | instid1(VALU_DEP_1)
	v_mad_u64_u32 v[17:18], null, v14, 31, v[16:17]
	v_mov_b32_e32 v16, v17
	s_delay_alu instid0(VALU_DEP_1) | instskip(NEXT) | instid1(VALU_DEP_1)
	v_lshrrev_b64 v[15:16], 5, v[15:16]
	v_lshlrev_b64 v[17:18], 2, v[15:16]
	s_delay_alu instid0(VALU_DEP_1) | instskip(NEXT) | instid1(VALU_DEP_2)
	v_add_co_u32 v17, vcc_lo, s10, v17
	v_add_co_ci_u32_e32 v18, vcc_lo, s11, v18, vcc_lo
	global_load_b32 v17, v[17:18], off
	v_add_co_u32 v18, vcc_lo, v15, 1
	v_add_co_ci_u32_e32 v20, vcc_lo, 0, v16, vcc_lo
	s_waitcnt vmcnt(0)
	v_cmp_lt_i32_e32 vcc_lo, v17, v19
	s_delay_alu instid0(VALU_DEP_2) | instskip(SKIP_2) | instid1(SALU_CYCLE_1)
	v_dual_cndmask_b32 v7, v7, v18 :: v_dual_cndmask_b32 v8, v8, v20
	v_dual_cndmask_b32 v13, v15, v13 :: v_dual_cndmask_b32 v14, v16, v14
	s_or_b32 exec_lo, exec_lo, s0
	s_mov_b32 s0, exec_lo
	s_delay_alu instid0(VALU_DEP_1)
	v_cmpx_lt_i64_e64 v[7:8], v[13:14]
	s_cbranch_execz .LBB28_11
.LBB28_17:
	v_mad_u64_u32 v[15:16], null, v13, 15, v[7:8]
	s_delay_alu instid0(VALU_DEP_1) | instskip(NEXT) | instid1(VALU_DEP_1)
	v_mad_u64_u32 v[17:18], null, v14, 15, v[16:17]
	v_mov_b32_e32 v16, v17
	s_delay_alu instid0(VALU_DEP_1) | instskip(NEXT) | instid1(VALU_DEP_1)
	v_lshrrev_b64 v[15:16], 4, v[15:16]
	v_lshlrev_b64 v[17:18], 2, v[15:16]
	s_delay_alu instid0(VALU_DEP_1) | instskip(NEXT) | instid1(VALU_DEP_2)
	v_add_co_u32 v17, vcc_lo, s10, v17
	v_add_co_ci_u32_e32 v18, vcc_lo, s11, v18, vcc_lo
	global_load_b32 v17, v[17:18], off
	v_add_co_u32 v18, vcc_lo, v15, 1
	v_add_co_ci_u32_e32 v20, vcc_lo, 0, v16, vcc_lo
	s_waitcnt vmcnt(0)
	v_cmp_lt_i32_e32 vcc_lo, v17, v19
	s_delay_alu instid0(VALU_DEP_2) | instskip(SKIP_2) | instid1(SALU_CYCLE_1)
	v_dual_cndmask_b32 v7, v7, v18 :: v_dual_cndmask_b32 v8, v8, v20
	v_dual_cndmask_b32 v13, v15, v13 :: v_dual_cndmask_b32 v14, v16, v14
	s_or_b32 exec_lo, exec_lo, s0
	s_mov_b32 s0, exec_lo
	s_delay_alu instid0(VALU_DEP_1)
	v_cmpx_lt_i64_e64 v[7:8], v[13:14]
	s_cbranch_execz .LBB28_21
.LBB28_18:
	s_mov_b32 s15, 0
	.p2align	6
.LBB28_19:                              ; =>This Inner Loop Header: Depth=1
	v_add_co_u32 v15, vcc_lo, v7, v13
	v_add_co_ci_u32_e32 v16, vcc_lo, v8, v14, vcc_lo
	s_delay_alu instid0(VALU_DEP_1) | instskip(NEXT) | instid1(VALU_DEP_1)
	v_ashrrev_i64 v[15:16], 1, v[15:16]
	v_lshlrev_b64 v[17:18], 2, v[15:16]
	s_delay_alu instid0(VALU_DEP_1) | instskip(NEXT) | instid1(VALU_DEP_2)
	v_add_co_u32 v17, vcc_lo, s10, v17
	v_add_co_ci_u32_e32 v18, vcc_lo, s11, v18, vcc_lo
	global_load_b32 v17, v[17:18], off
	v_add_co_u32 v18, vcc_lo, v15, 1
	v_add_co_ci_u32_e32 v20, vcc_lo, 0, v16, vcc_lo
	s_waitcnt vmcnt(0)
	v_cmp_lt_i32_e32 vcc_lo, v17, v19
	s_delay_alu instid0(VALU_DEP_2) | instskip(SKIP_1) | instid1(VALU_DEP_1)
	v_dual_cndmask_b32 v8, v8, v20 :: v_dual_cndmask_b32 v7, v7, v18
	v_dual_cndmask_b32 v14, v16, v14 :: v_dual_cndmask_b32 v13, v15, v13
	v_cmp_ge_i64_e32 vcc_lo, v[7:8], v[13:14]
	s_or_b32 s15, vcc_lo, s15
	s_delay_alu instid0(SALU_CYCLE_1)
	s_and_not1_b32 exec_lo, exec_lo, s15
	s_cbranch_execnz .LBB28_19
; %bb.20:
	s_or_b32 exec_lo, exec_lo, s15
.LBB28_21:
	s_delay_alu instid0(SALU_CYCLE_1)
	s_or_b32 exec_lo, exec_lo, s0
	v_dual_mov_b32 v13, 0 :: v_dual_mov_b32 v16, v12
	v_dual_mov_b32 v14, 0 :: v_dual_mov_b32 v15, v11
	s_mov_b32 s0, exec_lo
	v_cmpx_lt_i64_e32 0, v[11:12]
	s_cbranch_execnz .LBB28_26
; %bb.22:
	s_or_b32 exec_lo, exec_lo, s0
	s_delay_alu instid0(SALU_CYCLE_1)
	s_mov_b32 s0, exec_lo
	v_cmpx_lt_i64_e64 v[13:14], v[15:16]
	s_cbranch_execnz .LBB28_27
.LBB28_23:
	s_or_b32 exec_lo, exec_lo, s0
	s_delay_alu instid0(SALU_CYCLE_1)
	s_mov_b32 s0, exec_lo
	v_cmpx_lt_i64_e64 v[13:14], v[15:16]
	s_cbranch_execnz .LBB28_28
.LBB28_24:
	s_or_b32 exec_lo, exec_lo, s0
	s_delay_alu instid0(SALU_CYCLE_1)
	s_mov_b32 s0, exec_lo
	v_cmpx_lt_i64_e64 v[13:14], v[15:16]
	s_cbranch_execnz .LBB28_29
.LBB28_25:
	s_or_b32 exec_lo, exec_lo, s0
	s_delay_alu instid0(SALU_CYCLE_1)
	s_mov_b32 s0, exec_lo
	v_cmpx_lt_i64_e64 v[13:14], v[15:16]
	s_cbranch_execnz .LBB28_30
	s_branch .LBB28_33
.LBB28_26:
	v_mad_u64_u32 v[13:14], null, 0x1ff, v11, 0
	s_delay_alu instid0(VALU_DEP_1) | instskip(NEXT) | instid1(VALU_DEP_1)
	v_mad_u64_u32 v[15:16], null, 0x1ff, v12, v[14:15]
	v_mov_b32_e32 v14, v15
	s_delay_alu instid0(VALU_DEP_1) | instskip(NEXT) | instid1(VALU_DEP_1)
	v_lshrrev_b64 v[15:16], 9, v[13:14]
	v_lshlrev_b64 v[13:14], 2, v[15:16]
	s_delay_alu instid0(VALU_DEP_1) | instskip(NEXT) | instid1(VALU_DEP_2)
	v_add_co_u32 v13, vcc_lo, s2, v13
	v_add_co_ci_u32_e32 v14, vcc_lo, s3, v14, vcc_lo
	v_add_co_u32 v17, vcc_lo, v15, 1
	global_load_b32 v13, v[13:14], off
	v_add_co_ci_u32_e32 v14, vcc_lo, 0, v16, vcc_lo
	s_waitcnt vmcnt(0)
	v_cmp_lt_i32_e32 vcc_lo, v13, v19
	s_delay_alu instid0(VALU_DEP_2) | instskip(SKIP_2) | instid1(SALU_CYCLE_1)
	v_dual_cndmask_b32 v13, 0, v17 :: v_dual_cndmask_b32 v14, 0, v14
	v_dual_cndmask_b32 v15, v15, v11 :: v_dual_cndmask_b32 v16, v16, v12
	s_or_b32 exec_lo, exec_lo, s0
	s_mov_b32 s0, exec_lo
	s_delay_alu instid0(VALU_DEP_1)
	v_cmpx_lt_i64_e64 v[13:14], v[15:16]
	s_cbranch_execz .LBB28_23
.LBB28_27:
	v_mad_u64_u32 v[17:18], null, 0x7f, v15, v[13:14]
	s_waitcnt vmcnt(0)
	s_delay_alu instid0(VALU_DEP_1) | instskip(NEXT) | instid1(VALU_DEP_1)
	v_mad_u64_u32 v[20:21], null, 0x7f, v16, v[18:19]
	v_mov_b32_e32 v18, v20
	s_delay_alu instid0(VALU_DEP_1) | instskip(NEXT) | instid1(VALU_DEP_1)
	v_lshrrev_b64 v[17:18], 7, v[17:18]
	v_lshlrev_b64 v[20:21], 2, v[17:18]
	s_delay_alu instid0(VALU_DEP_1) | instskip(NEXT) | instid1(VALU_DEP_2)
	v_add_co_u32 v20, vcc_lo, s2, v20
	v_add_co_ci_u32_e32 v21, vcc_lo, s3, v21, vcc_lo
	global_load_b32 v20, v[20:21], off
	v_add_co_u32 v21, vcc_lo, v17, 1
	v_add_co_ci_u32_e32 v22, vcc_lo, 0, v18, vcc_lo
	s_waitcnt vmcnt(0)
	v_cmp_lt_i32_e32 vcc_lo, v20, v19
	s_delay_alu instid0(VALU_DEP_2) | instskip(SKIP_2) | instid1(SALU_CYCLE_1)
	v_dual_cndmask_b32 v13, v13, v21 :: v_dual_cndmask_b32 v14, v14, v22
	v_dual_cndmask_b32 v15, v17, v15 :: v_dual_cndmask_b32 v16, v18, v16
	s_or_b32 exec_lo, exec_lo, s0
	s_mov_b32 s0, exec_lo
	s_delay_alu instid0(VALU_DEP_1)
	v_cmpx_lt_i64_e64 v[13:14], v[15:16]
	s_cbranch_execz .LBB28_24
.LBB28_28:
	v_mad_u64_u32 v[17:18], null, v15, 31, v[13:14]
	s_waitcnt vmcnt(0)
	s_delay_alu instid0(VALU_DEP_1) | instskip(NEXT) | instid1(VALU_DEP_1)
	v_mad_u64_u32 v[20:21], null, v16, 31, v[18:19]
	v_mov_b32_e32 v18, v20
	s_delay_alu instid0(VALU_DEP_1) | instskip(NEXT) | instid1(VALU_DEP_1)
	v_lshrrev_b64 v[17:18], 5, v[17:18]
	v_lshlrev_b64 v[20:21], 2, v[17:18]
	s_delay_alu instid0(VALU_DEP_1) | instskip(NEXT) | instid1(VALU_DEP_2)
	v_add_co_u32 v20, vcc_lo, s2, v20
	v_add_co_ci_u32_e32 v21, vcc_lo, s3, v21, vcc_lo
	global_load_b32 v20, v[20:21], off
	v_add_co_u32 v21, vcc_lo, v17, 1
	v_add_co_ci_u32_e32 v22, vcc_lo, 0, v18, vcc_lo
	s_waitcnt vmcnt(0)
	v_cmp_lt_i32_e32 vcc_lo, v20, v19
	s_delay_alu instid0(VALU_DEP_2) | instskip(SKIP_2) | instid1(SALU_CYCLE_1)
	v_dual_cndmask_b32 v13, v13, v21 :: v_dual_cndmask_b32 v14, v14, v22
	v_dual_cndmask_b32 v15, v17, v15 :: v_dual_cndmask_b32 v16, v18, v16
	s_or_b32 exec_lo, exec_lo, s0
	s_mov_b32 s0, exec_lo
	s_delay_alu instid0(VALU_DEP_1)
	v_cmpx_lt_i64_e64 v[13:14], v[15:16]
	s_cbranch_execz .LBB28_25
.LBB28_29:
	v_mad_u64_u32 v[17:18], null, v15, 15, v[13:14]
	s_waitcnt vmcnt(0)
	s_delay_alu instid0(VALU_DEP_1) | instskip(NEXT) | instid1(VALU_DEP_1)
	v_mad_u64_u32 v[20:21], null, v16, 15, v[18:19]
	v_mov_b32_e32 v18, v20
	s_delay_alu instid0(VALU_DEP_1) | instskip(NEXT) | instid1(VALU_DEP_1)
	v_lshrrev_b64 v[17:18], 4, v[17:18]
	v_lshlrev_b64 v[20:21], 2, v[17:18]
	s_delay_alu instid0(VALU_DEP_1) | instskip(NEXT) | instid1(VALU_DEP_2)
	v_add_co_u32 v20, vcc_lo, s2, v20
	v_add_co_ci_u32_e32 v21, vcc_lo, s3, v21, vcc_lo
	global_load_b32 v20, v[20:21], off
	v_add_co_u32 v21, vcc_lo, v17, 1
	v_add_co_ci_u32_e32 v22, vcc_lo, 0, v18, vcc_lo
	s_waitcnt vmcnt(0)
	v_cmp_lt_i32_e32 vcc_lo, v20, v19
	s_delay_alu instid0(VALU_DEP_2) | instskip(SKIP_2) | instid1(SALU_CYCLE_1)
	v_dual_cndmask_b32 v13, v13, v21 :: v_dual_cndmask_b32 v14, v14, v22
	v_dual_cndmask_b32 v15, v17, v15 :: v_dual_cndmask_b32 v16, v18, v16
	s_or_b32 exec_lo, exec_lo, s0
	s_mov_b32 s0, exec_lo
	s_delay_alu instid0(VALU_DEP_1)
	v_cmpx_lt_i64_e64 v[13:14], v[15:16]
	s_cbranch_execz .LBB28_33
.LBB28_30:
	s_mov_b32 s15, 0
	.p2align	6
.LBB28_31:                              ; =>This Inner Loop Header: Depth=1
	v_add_co_u32 v17, vcc_lo, v13, v15
	v_add_co_ci_u32_e32 v18, vcc_lo, v14, v16, vcc_lo
	s_delay_alu instid0(VALU_DEP_1) | instskip(NEXT) | instid1(VALU_DEP_1)
	v_ashrrev_i64 v[17:18], 1, v[17:18]
	v_lshlrev_b64 v[20:21], 2, v[17:18]
	s_delay_alu instid0(VALU_DEP_1) | instskip(NEXT) | instid1(VALU_DEP_2)
	v_add_co_u32 v20, vcc_lo, s2, v20
	v_add_co_ci_u32_e32 v21, vcc_lo, s3, v21, vcc_lo
	global_load_b32 v20, v[20:21], off
	v_add_co_u32 v21, vcc_lo, v17, 1
	v_add_co_ci_u32_e32 v22, vcc_lo, 0, v18, vcc_lo
	s_waitcnt vmcnt(0)
	v_cmp_lt_i32_e32 vcc_lo, v20, v19
	s_delay_alu instid0(VALU_DEP_2) | instskip(SKIP_1) | instid1(VALU_DEP_1)
	v_dual_cndmask_b32 v14, v14, v22 :: v_dual_cndmask_b32 v13, v13, v21
	v_dual_cndmask_b32 v16, v18, v16 :: v_dual_cndmask_b32 v15, v17, v15
	v_cmp_ge_i64_e32 vcc_lo, v[13:14], v[15:16]
	s_or_b32 s15, vcc_lo, s15
	s_delay_alu instid0(SALU_CYCLE_1)
	s_and_not1_b32 exec_lo, exec_lo, s15
	s_cbranch_execnz .LBB28_31
; %bb.32:
	s_or_b32 exec_lo, exec_lo, s15
.LBB28_33:
	s_delay_alu instid0(SALU_CYCLE_1)
	s_or_b32 exec_lo, exec_lo, s0
	v_sub_co_u32 v1, vcc_lo, v1, v7
	v_sub_co_ci_u32_e32 v2, vcc_lo, v2, v8, vcc_lo
	v_sub_co_u32 v17, vcc_lo, v11, v13
	v_sub_co_ci_u32_e32 v18, vcc_lo, v12, v14, vcc_lo
	s_mov_b32 s0, exec_lo
	s_delay_alu instid0(VALU_DEP_2) | instskip(NEXT) | instid1(VALU_DEP_2)
	v_add_co_u32 v15, vcc_lo, v17, v1
	v_add_co_ci_u32_e32 v16, vcc_lo, v18, v2, vcc_lo
	s_delay_alu instid0(VALU_DEP_1) | instskip(NEXT) | instid1(VALU_DEP_1)
	v_ashrrev_i64 v[1:2], 1, v[15:16]
	v_cmp_gt_i64_e32 vcc_lo, v[1:2], v[17:18]
	v_dual_cndmask_b32 v2, v18, v2 :: v_dual_cndmask_b32 v1, v17, v1
	s_delay_alu instid0(VALU_DEP_1) | instskip(NEXT) | instid1(VALU_DEP_2)
	v_add_co_u32 v13, vcc_lo, v13, v1
	v_add_co_ci_u32_e32 v14, vcc_lo, v14, v2, vcc_lo
	s_delay_alu instid0(VALU_DEP_2) | instskip(NEXT) | instid1(VALU_DEP_2)
	v_add_co_u32 v13, vcc_lo, v13, 1
	v_add_co_ci_u32_e32 v14, vcc_lo, 0, v14, vcc_lo
	s_delay_alu instid0(VALU_DEP_1) | instskip(SKIP_2) | instid1(VALU_DEP_2)
	v_cmp_gt_i64_e32 vcc_lo, s[6:7], v[13:14]
	v_cndmask_b32_e32 v13, s6, v13, vcc_lo
	v_cndmask_b32_e32 v14, s7, v14, vcc_lo
	v_sub_co_u32 v13, vcc_lo, v13, v11
	s_delay_alu instid0(VALU_DEP_2) | instskip(SKIP_2) | instid1(VALU_DEP_3)
	v_sub_co_ci_u32_e32 v14, vcc_lo, v14, v12, vcc_lo
	v_mov_b32_e32 v11, 0
	v_mov_b32_e32 v12, 0
	v_cmpx_lt_i64_e32 0, v[13:14]
	s_cbranch_execz .LBB28_37
; %bb.34:
	v_mov_b32_e32 v11, 0
	v_mov_b32_e32 v12, 0
	s_mov_b32 s15, 0
	.p2align	6
.LBB28_35:                              ; =>This Inner Loop Header: Depth=1
	s_delay_alu instid0(VALU_DEP_2) | instskip(NEXT) | instid1(VALU_DEP_2)
	v_add_co_u32 v20, vcc_lo, v11, v13
	v_add_co_ci_u32_e32 v21, vcc_lo, v12, v14, vcc_lo
	s_delay_alu instid0(VALU_DEP_1) | instskip(NEXT) | instid1(VALU_DEP_1)
	v_ashrrev_i64 v[20:21], 1, v[20:21]
	v_lshlrev_b64 v[22:23], 2, v[20:21]
	s_delay_alu instid0(VALU_DEP_1) | instskip(NEXT) | instid1(VALU_DEP_2)
	v_add_co_u32 v22, vcc_lo, v9, v22
	v_add_co_ci_u32_e32 v23, vcc_lo, v10, v23, vcc_lo
	global_load_b32 v22, v[22:23], off
	v_add_co_u32 v23, vcc_lo, v20, 1
	v_add_co_ci_u32_e32 v24, vcc_lo, 0, v21, vcc_lo
	s_waitcnt vmcnt(0)
	v_cmp_gt_i32_e32 vcc_lo, v22, v19
	s_delay_alu instid0(VALU_DEP_2) | instskip(SKIP_1) | instid1(VALU_DEP_1)
	v_dual_cndmask_b32 v12, v24, v12 :: v_dual_cndmask_b32 v11, v23, v11
	v_dual_cndmask_b32 v14, v14, v21 :: v_dual_cndmask_b32 v13, v13, v20
	v_cmp_ge_i64_e32 vcc_lo, v[11:12], v[13:14]
	s_or_b32 s15, vcc_lo, s15
	s_delay_alu instid0(SALU_CYCLE_1)
	s_and_not1_b32 exec_lo, exec_lo, s15
	s_cbranch_execnz .LBB28_35
; %bb.36:
	s_or_b32 exec_lo, exec_lo, s15
	v_ashrrev_i32_e32 v12, 31, v11
.LBB28_37:
	s_or_b32 exec_lo, exec_lo, s0
	v_add_co_u32 v9, vcc_lo, v11, v17
	s_delay_alu instid0(VALU_DEP_2) | instskip(SKIP_1) | instid1(VALU_DEP_1)
	v_add_co_ci_u32_e32 v10, vcc_lo, v12, v18, vcc_lo
	s_mov_b32 s15, 0
	v_cmp_lt_i64_e32 vcc_lo, v[9:10], v[1:2]
	v_dual_cndmask_b32 v14, v2, v10 :: v_dual_cndmask_b32 v13, v1, v9
	s_delay_alu instid0(VALU_DEP_1) | instskip(NEXT) | instid1(VALU_DEP_2)
	v_sub_co_u32 v11, vcc_lo, v15, v13
	v_sub_co_ci_u32_e32 v12, vcc_lo, v16, v14, vcc_lo
	v_add_co_u32 v13, vcc_lo, v13, 1
	v_add_co_ci_u32_e32 v14, vcc_lo, 0, v14, vcc_lo
	v_cmp_lt_i64_e32 vcc_lo, v[1:2], v[9:10]
	v_mov_b32_e32 v10, s15
	s_delay_alu instid0(VALU_DEP_3) | instskip(NEXT) | instid1(VALU_DEP_1)
	v_cmp_eq_u64_e64 s0, v[11:12], v[13:14]
	s_and_b32 s0, s0, vcc_lo
	v_add_co_u32 v1, vcc_lo, v11, v7
	v_cndmask_b32_e64 v9, 0, 1, s0
	v_add_co_ci_u32_e32 v2, vcc_lo, v12, v8, vcc_lo
.LBB28_38:
	s_or_b32 exec_lo, exec_lo, s14
	s_delay_alu instid0(VALU_DEP_2) | instskip(SKIP_2) | instid1(VALU_DEP_2)
	v_add_co_u32 v3, vcc_lo, v9, v3
	v_add_co_ci_u32_e32 v4, vcc_lo, v10, v4, vcc_lo
	s_mov_b32 s0, exec_lo
	v_sub_co_u32 v3, vcc_lo, v3, v1
	s_delay_alu instid0(VALU_DEP_2) | instskip(SKIP_1) | instid1(SALU_CYCLE_1)
	v_sub_co_ci_u32_e32 v4, vcc_lo, v4, v2, vcc_lo
	s_or_b32 exec_lo, exec_lo, s13
	s_and_b32 vcc_lo, exec_lo, s12
	s_cbranch_vccz .LBB28_74
.LBB28_39:
	v_add_nc_u32_e32 v5, s1, v0
	s_add_u32 s0, s6, s4
	s_addc_u32 s1, s7, s5
	v_mov_b32_e32 v6, 0
	s_delay_alu instid0(VALU_DEP_2) | instskip(NEXT) | instid1(VALU_DEP_1)
	v_mad_u64_u32 v[0:1], null, 0xfff, v5, 0
	v_cmp_lt_i64_e32 vcc_lo, s[0:1], v[0:1]
	v_cndmask_b32_e64 v3, v0, s0, vcc_lo
	v_cndmask_b32_e64 v4, v1, s1, vcc_lo
	s_mov_b32 s1, 0
	s_delay_alu instid0(VALU_DEP_2) | instskip(NEXT) | instid1(VALU_DEP_2)
	v_sub_co_u32 v0, vcc_lo, v3, s6
	v_subrev_co_ci_u32_e32 v1, vcc_lo, s7, v4, vcc_lo
	v_cmp_lt_i64_e64 s0, s[4:5], v[3:4]
	s_delay_alu instid0(VALU_DEP_2) | instskip(NEXT) | instid1(VALU_DEP_2)
	v_cmp_lt_i64_e32 vcc_lo, 0, v[0:1]
	v_cndmask_b32_e64 v8, v4, s5, s0
	v_cndmask_b32_e64 v7, v3, s4, s0
	s_mov_b32 s0, exec_lo
	v_dual_cndmask_b32 v2, 0, v1 :: v_dual_cndmask_b32 v1, 0, v0
	s_delay_alu instid0(VALU_DEP_1)
	v_cmpx_lt_i64_e64 v[1:2], v[7:8]
	s_cbranch_execz .LBB28_43
; %bb.40:
	v_lshlrev_b64 v[9:10], 2, v[3:4]
	s_delay_alu instid0(VALU_DEP_1) | instskip(NEXT) | instid1(VALU_DEP_2)
	v_add_co_u32 v0, vcc_lo, s2, v9
	v_add_co_ci_u32_e32 v9, vcc_lo, s3, v10, vcc_lo
	s_set_inst_prefetch_distance 0x1
	.p2align	6
.LBB28_41:                              ; =>This Inner Loop Header: Depth=1
	v_add_co_u32 v10, vcc_lo, v7, v1
	v_add_co_ci_u32_e32 v11, vcc_lo, v8, v2, vcc_lo
	s_delay_alu instid0(VALU_DEP_1) | instskip(NEXT) | instid1(VALU_DEP_1)
	v_ashrrev_i64 v[10:11], 1, v[10:11]
	v_not_b32_e32 v13, v11
	s_delay_alu instid0(VALU_DEP_2) | instskip(SKIP_1) | instid1(VALU_DEP_2)
	v_not_b32_e32 v12, v10
	v_lshlrev_b64 v[14:15], 2, v[10:11]
	v_lshlrev_b64 v[12:13], 2, v[12:13]
	s_delay_alu instid0(VALU_DEP_2) | instskip(NEXT) | instid1(VALU_DEP_3)
	v_add_co_u32 v14, vcc_lo, s10, v14
	v_add_co_ci_u32_e32 v15, vcc_lo, s11, v15, vcc_lo
	s_delay_alu instid0(VALU_DEP_3) | instskip(NEXT) | instid1(VALU_DEP_4)
	v_add_co_u32 v12, vcc_lo, v0, v12
	v_add_co_ci_u32_e32 v13, vcc_lo, v9, v13, vcc_lo
	global_load_b32 v14, v[14:15], off
	global_load_b32 v12, v[12:13], off
	v_add_co_u32 v13, vcc_lo, v10, 1
	v_add_co_ci_u32_e32 v15, vcc_lo, 0, v11, vcc_lo
	s_waitcnt vmcnt(0)
	v_cmp_lt_i32_e32 vcc_lo, v12, v14
	v_dual_cndmask_b32 v8, v8, v11 :: v_dual_cndmask_b32 v7, v7, v10
	s_delay_alu instid0(VALU_DEP_3) | instskip(NEXT) | instid1(VALU_DEP_1)
	v_dual_cndmask_b32 v2, v15, v2 :: v_dual_cndmask_b32 v1, v13, v1
	v_cmp_ge_i64_e32 vcc_lo, v[1:2], v[7:8]
	s_or_b32 s1, vcc_lo, s1
	s_delay_alu instid0(SALU_CYCLE_1)
	s_and_not1_b32 exec_lo, exec_lo, s1
	s_cbranch_execnz .LBB28_41
; %bb.42:
	s_set_inst_prefetch_distance 0x2
	s_or_b32 exec_lo, exec_lo, s1
.LBB28_43:
	s_delay_alu instid0(SALU_CYCLE_1)
	s_or_b32 exec_lo, exec_lo, s0
	v_sub_co_u32 v11, vcc_lo, v3, v1
	v_mov_b32_e32 v9, 0
	v_sub_co_ci_u32_e32 v12, vcc_lo, v4, v2, vcc_lo
	v_mov_b32_e32 v10, 0
	s_mov_b32 s1, exec_lo
	s_delay_alu instid0(VALU_DEP_2)
	v_cmpx_gt_i64_e64 s[6:7], v[11:12]
	s_cbranch_execz .LBB28_73
; %bb.44:
	v_lshlrev_b64 v[7:8], 2, v[11:12]
	s_mov_b32 s0, exec_lo
	v_dual_mov_b32 v14, v2 :: v_dual_mov_b32 v13, v1
	s_delay_alu instid0(VALU_DEP_2) | instskip(NEXT) | instid1(VALU_DEP_3)
	v_add_co_u32 v9, vcc_lo, s2, v7
	v_add_co_ci_u32_e32 v10, vcc_lo, s3, v8, vcc_lo
	v_mov_b32_e32 v7, 0
	v_mov_b32_e32 v8, 0
	global_load_b32 v19, v[9:10], off
	v_cmpx_lt_i64_e32 0, v[1:2]
	s_cbranch_execnz .LBB28_49
; %bb.45:
	s_or_b32 exec_lo, exec_lo, s0
	s_delay_alu instid0(SALU_CYCLE_1)
	s_mov_b32 s0, exec_lo
	v_cmpx_lt_i64_e64 v[7:8], v[13:14]
	s_cbranch_execnz .LBB28_50
.LBB28_46:
	s_or_b32 exec_lo, exec_lo, s0
	s_delay_alu instid0(SALU_CYCLE_1)
	s_mov_b32 s0, exec_lo
	v_cmpx_lt_i64_e64 v[7:8], v[13:14]
	s_cbranch_execnz .LBB28_51
.LBB28_47:
	s_or_b32 exec_lo, exec_lo, s0
	s_delay_alu instid0(SALU_CYCLE_1)
	s_mov_b32 s0, exec_lo
	v_cmpx_lt_i64_e64 v[7:8], v[13:14]
	s_cbranch_execnz .LBB28_52
.LBB28_48:
	s_or_b32 exec_lo, exec_lo, s0
	s_delay_alu instid0(SALU_CYCLE_1)
	s_mov_b32 s0, exec_lo
	v_cmpx_lt_i64_e64 v[7:8], v[13:14]
	s_cbranch_execnz .LBB28_53
	s_branch .LBB28_56
.LBB28_49:
	v_mad_u64_u32 v[7:8], null, 0x1ff, v1, 0
	s_delay_alu instid0(VALU_DEP_1) | instskip(NEXT) | instid1(VALU_DEP_1)
	v_mov_b32_e32 v0, v8
	v_mad_u64_u32 v[13:14], null, 0x1ff, v2, v[0:1]
	s_delay_alu instid0(VALU_DEP_1) | instskip(NEXT) | instid1(VALU_DEP_1)
	v_mov_b32_e32 v8, v13
	v_lshrrev_b64 v[13:14], 9, v[7:8]
	s_delay_alu instid0(VALU_DEP_1) | instskip(NEXT) | instid1(VALU_DEP_1)
	v_lshlrev_b64 v[7:8], 2, v[13:14]
	v_add_co_u32 v7, vcc_lo, s10, v7
	s_delay_alu instid0(VALU_DEP_2)
	v_add_co_ci_u32_e32 v8, vcc_lo, s11, v8, vcc_lo
	global_load_b32 v0, v[7:8], off
	v_add_co_u32 v7, vcc_lo, v13, 1
	v_add_co_ci_u32_e32 v8, vcc_lo, 0, v14, vcc_lo
	s_waitcnt vmcnt(0)
	v_cmp_lt_i32_e32 vcc_lo, v0, v19
	s_delay_alu instid0(VALU_DEP_2) | instskip(SKIP_2) | instid1(SALU_CYCLE_1)
	v_dual_cndmask_b32 v7, 0, v7 :: v_dual_cndmask_b32 v8, 0, v8
	v_dual_cndmask_b32 v13, v13, v1 :: v_dual_cndmask_b32 v14, v14, v2
	s_or_b32 exec_lo, exec_lo, s0
	s_mov_b32 s0, exec_lo
	s_delay_alu instid0(VALU_DEP_1)
	v_cmpx_lt_i64_e64 v[7:8], v[13:14]
	s_cbranch_execz .LBB28_46
.LBB28_50:
	v_mad_u64_u32 v[15:16], null, 0x7f, v13, v[7:8]
	s_delay_alu instid0(VALU_DEP_1) | instskip(NEXT) | instid1(VALU_DEP_1)
	v_mov_b32_e32 v0, v16
	v_mad_u64_u32 v[16:17], null, 0x7f, v14, v[0:1]
	s_delay_alu instid0(VALU_DEP_1) | instskip(NEXT) | instid1(VALU_DEP_1)
	v_lshrrev_b64 v[15:16], 7, v[15:16]
	v_lshlrev_b64 v[17:18], 2, v[15:16]
	s_delay_alu instid0(VALU_DEP_1) | instskip(NEXT) | instid1(VALU_DEP_2)
	v_add_co_u32 v17, vcc_lo, s10, v17
	v_add_co_ci_u32_e32 v18, vcc_lo, s11, v18, vcc_lo
	global_load_b32 v0, v[17:18], off
	v_add_co_u32 v17, vcc_lo, v15, 1
	v_add_co_ci_u32_e32 v18, vcc_lo, 0, v16, vcc_lo
	s_waitcnt vmcnt(0)
	v_cmp_lt_i32_e32 vcc_lo, v0, v19
	s_delay_alu instid0(VALU_DEP_2) | instskip(SKIP_2) | instid1(SALU_CYCLE_1)
	v_dual_cndmask_b32 v7, v7, v17 :: v_dual_cndmask_b32 v8, v8, v18
	v_dual_cndmask_b32 v13, v15, v13 :: v_dual_cndmask_b32 v14, v16, v14
	s_or_b32 exec_lo, exec_lo, s0
	s_mov_b32 s0, exec_lo
	s_delay_alu instid0(VALU_DEP_1)
	v_cmpx_lt_i64_e64 v[7:8], v[13:14]
	s_cbranch_execz .LBB28_47
.LBB28_51:
	v_mad_u64_u32 v[15:16], null, v13, 31, v[7:8]
	s_delay_alu instid0(VALU_DEP_1) | instskip(NEXT) | instid1(VALU_DEP_1)
	v_mov_b32_e32 v0, v16
	v_mad_u64_u32 v[16:17], null, v14, 31, v[0:1]
	s_delay_alu instid0(VALU_DEP_1) | instskip(NEXT) | instid1(VALU_DEP_1)
	v_lshrrev_b64 v[15:16], 5, v[15:16]
	v_lshlrev_b64 v[17:18], 2, v[15:16]
	s_delay_alu instid0(VALU_DEP_1) | instskip(NEXT) | instid1(VALU_DEP_2)
	v_add_co_u32 v17, vcc_lo, s10, v17
	v_add_co_ci_u32_e32 v18, vcc_lo, s11, v18, vcc_lo
	global_load_b32 v0, v[17:18], off
	v_add_co_u32 v17, vcc_lo, v15, 1
	v_add_co_ci_u32_e32 v18, vcc_lo, 0, v16, vcc_lo
	s_waitcnt vmcnt(0)
	v_cmp_lt_i32_e32 vcc_lo, v0, v19
	s_delay_alu instid0(VALU_DEP_2) | instskip(SKIP_2) | instid1(SALU_CYCLE_1)
	v_dual_cndmask_b32 v7, v7, v17 :: v_dual_cndmask_b32 v8, v8, v18
	v_dual_cndmask_b32 v13, v15, v13 :: v_dual_cndmask_b32 v14, v16, v14
	s_or_b32 exec_lo, exec_lo, s0
	s_mov_b32 s0, exec_lo
	s_delay_alu instid0(VALU_DEP_1)
	v_cmpx_lt_i64_e64 v[7:8], v[13:14]
	s_cbranch_execz .LBB28_48
.LBB28_52:
	v_mad_u64_u32 v[15:16], null, v13, 15, v[7:8]
	s_delay_alu instid0(VALU_DEP_1) | instskip(NEXT) | instid1(VALU_DEP_1)
	v_mov_b32_e32 v0, v16
	v_mad_u64_u32 v[16:17], null, v14, 15, v[0:1]
	s_delay_alu instid0(VALU_DEP_1) | instskip(NEXT) | instid1(VALU_DEP_1)
	v_lshrrev_b64 v[15:16], 4, v[15:16]
	v_lshlrev_b64 v[17:18], 2, v[15:16]
	s_delay_alu instid0(VALU_DEP_1) | instskip(NEXT) | instid1(VALU_DEP_2)
	v_add_co_u32 v17, vcc_lo, s10, v17
	v_add_co_ci_u32_e32 v18, vcc_lo, s11, v18, vcc_lo
	global_load_b32 v0, v[17:18], off
	v_add_co_u32 v17, vcc_lo, v15, 1
	v_add_co_ci_u32_e32 v18, vcc_lo, 0, v16, vcc_lo
	s_waitcnt vmcnt(0)
	v_cmp_lt_i32_e32 vcc_lo, v0, v19
	s_delay_alu instid0(VALU_DEP_2) | instskip(SKIP_2) | instid1(SALU_CYCLE_1)
	v_dual_cndmask_b32 v7, v7, v17 :: v_dual_cndmask_b32 v8, v8, v18
	v_dual_cndmask_b32 v13, v15, v13 :: v_dual_cndmask_b32 v14, v16, v14
	s_or_b32 exec_lo, exec_lo, s0
	s_mov_b32 s0, exec_lo
	s_delay_alu instid0(VALU_DEP_1)
	v_cmpx_lt_i64_e64 v[7:8], v[13:14]
	s_cbranch_execz .LBB28_56
.LBB28_53:
	s_mov_b32 s4, 0
	.p2align	6
.LBB28_54:                              ; =>This Inner Loop Header: Depth=1
	v_add_co_u32 v15, vcc_lo, v7, v13
	v_add_co_ci_u32_e32 v16, vcc_lo, v8, v14, vcc_lo
	s_delay_alu instid0(VALU_DEP_1) | instskip(NEXT) | instid1(VALU_DEP_1)
	v_ashrrev_i64 v[15:16], 1, v[15:16]
	v_lshlrev_b64 v[17:18], 2, v[15:16]
	s_delay_alu instid0(VALU_DEP_1) | instskip(NEXT) | instid1(VALU_DEP_2)
	v_add_co_u32 v17, vcc_lo, s10, v17
	v_add_co_ci_u32_e32 v18, vcc_lo, s11, v18, vcc_lo
	global_load_b32 v0, v[17:18], off
	v_add_co_u32 v17, vcc_lo, v15, 1
	v_add_co_ci_u32_e32 v18, vcc_lo, 0, v16, vcc_lo
	s_waitcnt vmcnt(0)
	v_cmp_lt_i32_e32 vcc_lo, v0, v19
	s_delay_alu instid0(VALU_DEP_2) | instskip(SKIP_1) | instid1(VALU_DEP_1)
	v_dual_cndmask_b32 v8, v8, v18 :: v_dual_cndmask_b32 v7, v7, v17
	v_dual_cndmask_b32 v14, v16, v14 :: v_dual_cndmask_b32 v13, v15, v13
	v_cmp_ge_i64_e32 vcc_lo, v[7:8], v[13:14]
	s_or_b32 s4, vcc_lo, s4
	s_delay_alu instid0(SALU_CYCLE_1)
	s_and_not1_b32 exec_lo, exec_lo, s4
	s_cbranch_execnz .LBB28_54
; %bb.55:
	s_or_b32 exec_lo, exec_lo, s4
.LBB28_56:
	s_delay_alu instid0(SALU_CYCLE_1)
	s_or_b32 exec_lo, exec_lo, s0
	v_dual_mov_b32 v13, 0 :: v_dual_mov_b32 v16, v12
	v_dual_mov_b32 v14, 0 :: v_dual_mov_b32 v15, v11
	s_mov_b32 s0, exec_lo
	v_cmpx_lt_i64_e32 0, v[11:12]
	s_cbranch_execnz .LBB28_61
; %bb.57:
	s_or_b32 exec_lo, exec_lo, s0
	s_delay_alu instid0(SALU_CYCLE_1)
	s_mov_b32 s0, exec_lo
	v_cmpx_lt_i64_e64 v[13:14], v[15:16]
	s_cbranch_execnz .LBB28_62
.LBB28_58:
	s_or_b32 exec_lo, exec_lo, s0
	s_delay_alu instid0(SALU_CYCLE_1)
	s_mov_b32 s0, exec_lo
	v_cmpx_lt_i64_e64 v[13:14], v[15:16]
	s_cbranch_execnz .LBB28_63
.LBB28_59:
	s_or_b32 exec_lo, exec_lo, s0
	s_delay_alu instid0(SALU_CYCLE_1)
	s_mov_b32 s0, exec_lo
	v_cmpx_lt_i64_e64 v[13:14], v[15:16]
	s_cbranch_execnz .LBB28_64
.LBB28_60:
	s_or_b32 exec_lo, exec_lo, s0
	s_delay_alu instid0(SALU_CYCLE_1)
	s_mov_b32 s0, exec_lo
	v_cmpx_lt_i64_e64 v[13:14], v[15:16]
	s_cbranch_execnz .LBB28_65
	s_branch .LBB28_68
.LBB28_61:
	v_mad_u64_u32 v[13:14], null, 0x1ff, v11, 0
	s_delay_alu instid0(VALU_DEP_1) | instskip(NEXT) | instid1(VALU_DEP_1)
	v_mov_b32_e32 v0, v14
	v_mad_u64_u32 v[14:15], null, 0x1ff, v12, v[0:1]
	s_delay_alu instid0(VALU_DEP_1) | instskip(NEXT) | instid1(VALU_DEP_1)
	v_lshrrev_b64 v[15:16], 9, v[13:14]
	v_lshlrev_b64 v[13:14], 2, v[15:16]
	s_delay_alu instid0(VALU_DEP_1) | instskip(NEXT) | instid1(VALU_DEP_2)
	v_add_co_u32 v13, vcc_lo, s2, v13
	v_add_co_ci_u32_e32 v14, vcc_lo, s3, v14, vcc_lo
	global_load_b32 v0, v[13:14], off
	v_add_co_u32 v13, vcc_lo, v15, 1
	v_add_co_ci_u32_e32 v14, vcc_lo, 0, v16, vcc_lo
	s_waitcnt vmcnt(0)
	v_cmp_lt_i32_e32 vcc_lo, v0, v19
	s_delay_alu instid0(VALU_DEP_2) | instskip(SKIP_2) | instid1(SALU_CYCLE_1)
	v_dual_cndmask_b32 v13, 0, v13 :: v_dual_cndmask_b32 v14, 0, v14
	v_dual_cndmask_b32 v15, v15, v11 :: v_dual_cndmask_b32 v16, v16, v12
	s_or_b32 exec_lo, exec_lo, s0
	s_mov_b32 s0, exec_lo
	s_delay_alu instid0(VALU_DEP_1)
	v_cmpx_lt_i64_e64 v[13:14], v[15:16]
	s_cbranch_execz .LBB28_58
.LBB28_62:
	v_mad_u64_u32 v[17:18], null, 0x7f, v15, v[13:14]
	s_delay_alu instid0(VALU_DEP_1) | instskip(NEXT) | instid1(VALU_DEP_1)
	v_mov_b32_e32 v0, v18
	v_mad_u64_u32 v[20:21], null, 0x7f, v16, v[0:1]
	s_delay_alu instid0(VALU_DEP_1) | instskip(NEXT) | instid1(VALU_DEP_1)
	v_mov_b32_e32 v18, v20
	v_lshrrev_b64 v[17:18], 7, v[17:18]
	s_delay_alu instid0(VALU_DEP_1) | instskip(NEXT) | instid1(VALU_DEP_1)
	v_lshlrev_b64 v[20:21], 2, v[17:18]
	v_add_co_u32 v20, vcc_lo, s2, v20
	s_delay_alu instid0(VALU_DEP_2)
	v_add_co_ci_u32_e32 v21, vcc_lo, s3, v21, vcc_lo
	global_load_b32 v0, v[20:21], off
	v_add_co_u32 v20, vcc_lo, v17, 1
	v_add_co_ci_u32_e32 v21, vcc_lo, 0, v18, vcc_lo
	s_waitcnt vmcnt(0)
	v_cmp_lt_i32_e32 vcc_lo, v0, v19
	s_delay_alu instid0(VALU_DEP_2) | instskip(SKIP_3) | instid1(SALU_CYCLE_1)
	v_dual_cndmask_b32 v15, v17, v15 :: v_dual_cndmask_b32 v14, v14, v21
	v_cndmask_b32_e32 v13, v13, v20, vcc_lo
	v_cndmask_b32_e32 v16, v18, v16, vcc_lo
	s_or_b32 exec_lo, exec_lo, s0
	s_mov_b32 s0, exec_lo
	s_delay_alu instid0(VALU_DEP_1)
	v_cmpx_lt_i64_e64 v[13:14], v[15:16]
	s_cbranch_execz .LBB28_59
.LBB28_63:
	v_mad_u64_u32 v[17:18], null, v15, 31, v[13:14]
	s_delay_alu instid0(VALU_DEP_1) | instskip(NEXT) | instid1(VALU_DEP_1)
	v_mov_b32_e32 v0, v18
	v_mad_u64_u32 v[20:21], null, v16, 31, v[0:1]
	s_delay_alu instid0(VALU_DEP_1) | instskip(NEXT) | instid1(VALU_DEP_1)
	v_mov_b32_e32 v18, v20
	v_lshrrev_b64 v[17:18], 5, v[17:18]
	s_delay_alu instid0(VALU_DEP_1) | instskip(NEXT) | instid1(VALU_DEP_1)
	v_lshlrev_b64 v[20:21], 2, v[17:18]
	v_add_co_u32 v20, vcc_lo, s2, v20
	s_delay_alu instid0(VALU_DEP_2)
	v_add_co_ci_u32_e32 v21, vcc_lo, s3, v21, vcc_lo
	global_load_b32 v0, v[20:21], off
	v_add_co_u32 v20, vcc_lo, v17, 1
	v_add_co_ci_u32_e32 v21, vcc_lo, 0, v18, vcc_lo
	s_waitcnt vmcnt(0)
	v_cmp_lt_i32_e32 vcc_lo, v0, v19
	s_delay_alu instid0(VALU_DEP_2) | instskip(SKIP_3) | instid1(SALU_CYCLE_1)
	v_dual_cndmask_b32 v15, v17, v15 :: v_dual_cndmask_b32 v14, v14, v21
	v_cndmask_b32_e32 v13, v13, v20, vcc_lo
	v_cndmask_b32_e32 v16, v18, v16, vcc_lo
	s_or_b32 exec_lo, exec_lo, s0
	s_mov_b32 s0, exec_lo
	s_delay_alu instid0(VALU_DEP_1)
	v_cmpx_lt_i64_e64 v[13:14], v[15:16]
	s_cbranch_execz .LBB28_60
.LBB28_64:
	v_mad_u64_u32 v[17:18], null, v15, 15, v[13:14]
	s_delay_alu instid0(VALU_DEP_1) | instskip(NEXT) | instid1(VALU_DEP_1)
	v_mov_b32_e32 v0, v18
	v_mad_u64_u32 v[20:21], null, v16, 15, v[0:1]
	s_delay_alu instid0(VALU_DEP_1) | instskip(NEXT) | instid1(VALU_DEP_1)
	v_mov_b32_e32 v18, v20
	v_lshrrev_b64 v[17:18], 4, v[17:18]
	s_delay_alu instid0(VALU_DEP_1) | instskip(NEXT) | instid1(VALU_DEP_1)
	v_lshlrev_b64 v[20:21], 2, v[17:18]
	v_add_co_u32 v20, vcc_lo, s2, v20
	s_delay_alu instid0(VALU_DEP_2)
	v_add_co_ci_u32_e32 v21, vcc_lo, s3, v21, vcc_lo
	global_load_b32 v0, v[20:21], off
	v_add_co_u32 v20, vcc_lo, v17, 1
	v_add_co_ci_u32_e32 v21, vcc_lo, 0, v18, vcc_lo
	s_waitcnt vmcnt(0)
	v_cmp_lt_i32_e32 vcc_lo, v0, v19
	s_delay_alu instid0(VALU_DEP_2) | instskip(SKIP_3) | instid1(SALU_CYCLE_1)
	v_dual_cndmask_b32 v15, v17, v15 :: v_dual_cndmask_b32 v14, v14, v21
	v_cndmask_b32_e32 v13, v13, v20, vcc_lo
	v_cndmask_b32_e32 v16, v18, v16, vcc_lo
	s_or_b32 exec_lo, exec_lo, s0
	s_mov_b32 s0, exec_lo
	s_delay_alu instid0(VALU_DEP_1)
	v_cmpx_lt_i64_e64 v[13:14], v[15:16]
	s_cbranch_execz .LBB28_68
.LBB28_65:
	s_mov_b32 s4, 0
	.p2align	6
.LBB28_66:                              ; =>This Inner Loop Header: Depth=1
	v_add_co_u32 v17, vcc_lo, v13, v15
	v_add_co_ci_u32_e32 v18, vcc_lo, v14, v16, vcc_lo
	s_delay_alu instid0(VALU_DEP_1) | instskip(NEXT) | instid1(VALU_DEP_1)
	v_ashrrev_i64 v[17:18], 1, v[17:18]
	v_lshlrev_b64 v[20:21], 2, v[17:18]
	s_delay_alu instid0(VALU_DEP_1) | instskip(NEXT) | instid1(VALU_DEP_2)
	v_add_co_u32 v20, vcc_lo, s2, v20
	v_add_co_ci_u32_e32 v21, vcc_lo, s3, v21, vcc_lo
	global_load_b32 v0, v[20:21], off
	v_add_co_u32 v20, vcc_lo, v17, 1
	v_add_co_ci_u32_e32 v21, vcc_lo, 0, v18, vcc_lo
	s_waitcnt vmcnt(0)
	v_cmp_lt_i32_e32 vcc_lo, v0, v19
	s_delay_alu instid0(VALU_DEP_2) | instskip(SKIP_1) | instid1(VALU_DEP_1)
	v_dual_cndmask_b32 v14, v14, v21 :: v_dual_cndmask_b32 v13, v13, v20
	v_dual_cndmask_b32 v16, v18, v16 :: v_dual_cndmask_b32 v15, v17, v15
	v_cmp_ge_i64_e32 vcc_lo, v[13:14], v[15:16]
	s_or_b32 s4, vcc_lo, s4
	s_delay_alu instid0(SALU_CYCLE_1)
	s_and_not1_b32 exec_lo, exec_lo, s4
	s_cbranch_execnz .LBB28_66
; %bb.67:
	s_or_b32 exec_lo, exec_lo, s4
.LBB28_68:
	s_delay_alu instid0(SALU_CYCLE_1)
	s_or_b32 exec_lo, exec_lo, s0
	v_sub_co_u32 v0, vcc_lo, v1, v7
	v_sub_co_ci_u32_e32 v1, vcc_lo, v2, v8, vcc_lo
	v_sub_co_u32 v17, vcc_lo, v11, v13
	v_sub_co_ci_u32_e32 v18, vcc_lo, v12, v14, vcc_lo
	s_mov_b32 s0, exec_lo
	s_delay_alu instid0(VALU_DEP_2) | instskip(NEXT) | instid1(VALU_DEP_2)
	v_add_co_u32 v15, vcc_lo, v17, v0
	v_add_co_ci_u32_e32 v16, vcc_lo, v18, v1, vcc_lo
	s_delay_alu instid0(VALU_DEP_1) | instskip(NEXT) | instid1(VALU_DEP_1)
	v_ashrrev_i64 v[0:1], 1, v[15:16]
	v_cmp_gt_i64_e32 vcc_lo, v[0:1], v[17:18]
	v_dual_cndmask_b32 v1, v18, v1 :: v_dual_cndmask_b32 v0, v17, v0
	s_delay_alu instid0(VALU_DEP_1) | instskip(NEXT) | instid1(VALU_DEP_2)
	v_add_co_u32 v2, vcc_lo, v13, v0
	v_add_co_ci_u32_e32 v14, vcc_lo, v14, v1, vcc_lo
	s_delay_alu instid0(VALU_DEP_2) | instskip(NEXT) | instid1(VALU_DEP_2)
	v_add_co_u32 v13, vcc_lo, v2, 1
	v_add_co_ci_u32_e32 v14, vcc_lo, 0, v14, vcc_lo
	s_delay_alu instid0(VALU_DEP_1) | instskip(SKIP_2) | instid1(VALU_DEP_2)
	v_cmp_gt_i64_e32 vcc_lo, s[6:7], v[13:14]
	v_cndmask_b32_e32 v13, s6, v13, vcc_lo
	v_cndmask_b32_e32 v2, s7, v14, vcc_lo
	v_sub_co_u32 v13, vcc_lo, v13, v11
	s_delay_alu instid0(VALU_DEP_2) | instskip(SKIP_2) | instid1(VALU_DEP_3)
	v_sub_co_ci_u32_e32 v14, vcc_lo, v2, v12, vcc_lo
	v_mov_b32_e32 v11, 0
	v_mov_b32_e32 v12, 0
	v_cmpx_lt_i64_e32 0, v[13:14]
	s_cbranch_execz .LBB28_72
; %bb.69:
	v_mov_b32_e32 v11, 0
	v_mov_b32_e32 v12, 0
	s_mov_b32 s2, 0
	.p2align	6
.LBB28_70:                              ; =>This Inner Loop Header: Depth=1
	s_delay_alu instid0(VALU_DEP_2) | instskip(NEXT) | instid1(VALU_DEP_2)
	v_add_co_u32 v20, vcc_lo, v11, v13
	v_add_co_ci_u32_e32 v21, vcc_lo, v12, v14, vcc_lo
	s_delay_alu instid0(VALU_DEP_1) | instskip(NEXT) | instid1(VALU_DEP_1)
	v_ashrrev_i64 v[20:21], 1, v[20:21]
	v_lshlrev_b64 v[22:23], 2, v[20:21]
	s_delay_alu instid0(VALU_DEP_1) | instskip(NEXT) | instid1(VALU_DEP_2)
	v_add_co_u32 v22, vcc_lo, v9, v22
	v_add_co_ci_u32_e32 v23, vcc_lo, v10, v23, vcc_lo
	global_load_b32 v2, v[22:23], off
	v_add_co_u32 v22, vcc_lo, v20, 1
	v_add_co_ci_u32_e32 v23, vcc_lo, 0, v21, vcc_lo
	s_waitcnt vmcnt(0)
	v_cmp_gt_i32_e32 vcc_lo, v2, v19
	s_delay_alu instid0(VALU_DEP_2) | instskip(SKIP_1) | instid1(VALU_DEP_1)
	v_dual_cndmask_b32 v12, v23, v12 :: v_dual_cndmask_b32 v11, v22, v11
	v_dual_cndmask_b32 v14, v14, v21 :: v_dual_cndmask_b32 v13, v13, v20
	v_cmp_ge_i64_e32 vcc_lo, v[11:12], v[13:14]
	s_or_b32 s2, vcc_lo, s2
	s_delay_alu instid0(SALU_CYCLE_1)
	s_and_not1_b32 exec_lo, exec_lo, s2
	s_cbranch_execnz .LBB28_70
; %bb.71:
	s_or_b32 exec_lo, exec_lo, s2
	v_ashrrev_i32_e32 v12, 31, v11
.LBB28_72:
	s_or_b32 exec_lo, exec_lo, s0
	v_add_co_u32 v9, vcc_lo, v11, v17
	s_delay_alu instid0(VALU_DEP_2) | instskip(SKIP_1) | instid1(VALU_DEP_1)
	v_add_co_ci_u32_e32 v10, vcc_lo, v12, v18, vcc_lo
	s_mov_b32 s2, 0
	v_cmp_lt_i64_e32 vcc_lo, v[9:10], v[0:1]
	v_dual_cndmask_b32 v2, v1, v10 :: v_dual_cndmask_b32 v13, v0, v9
	s_delay_alu instid0(VALU_DEP_1) | instskip(NEXT) | instid1(VALU_DEP_2)
	v_sub_co_u32 v11, vcc_lo, v15, v13
	v_sub_co_ci_u32_e32 v12, vcc_lo, v16, v2, vcc_lo
	v_add_co_u32 v13, vcc_lo, v13, 1
	v_add_co_ci_u32_e32 v14, vcc_lo, 0, v2, vcc_lo
	v_cmp_lt_i64_e32 vcc_lo, v[0:1], v[9:10]
	v_mov_b32_e32 v10, s2
	s_delay_alu instid0(VALU_DEP_3) | instskip(NEXT) | instid1(VALU_DEP_1)
	v_cmp_eq_u64_e64 s0, v[11:12], v[13:14]
	s_and_b32 s0, s0, vcc_lo
	v_add_co_u32 v1, vcc_lo, v11, v7
	v_cndmask_b32_e64 v9, 0, 1, s0
	v_add_co_ci_u32_e32 v2, vcc_lo, v12, v8, vcc_lo
.LBB28_73:
	s_or_b32 exec_lo, exec_lo, s1
	s_delay_alu instid0(VALU_DEP_2) | instskip(SKIP_2) | instid1(VALU_DEP_2)
	v_add_co_u32 v0, vcc_lo, v9, v3
	v_add_co_ci_u32_e32 v4, vcc_lo, v10, v4, vcc_lo
	s_mov_b32 s0, -1
	v_sub_co_u32 v3, vcc_lo, v0, v1
	s_delay_alu instid0(VALU_DEP_2)
	v_sub_co_ci_u32_e32 v4, vcc_lo, v4, v2, vcc_lo
.LBB28_74:
	s_and_saveexec_b32 s1, s0
	s_cbranch_execnz .LBB28_76
; %bb.75:
	s_endpgm
.LBB28_76:
	v_lshlrev_b64 v[5:6], 4, v[5:6]
	s_delay_alu instid0(VALU_DEP_1) | instskip(NEXT) | instid1(VALU_DEP_2)
	v_add_co_u32 v5, vcc_lo, s8, v5
	v_add_co_ci_u32_e32 v6, vcc_lo, s9, v6, vcc_lo
	global_store_b128 v[5:6], v[1:4], off
	s_nop 0
	s_sendmsg sendmsg(MSG_DEALLOC_VGPRS)
	s_endpgm
	.section	.rodata,"a",@progbits
	.p2align	6, 0x0
	.amdhsa_kernel _ZN6thrust23THRUST_200600_302600_NS11hip_rocprim14__parallel_for6kernelILj256EZNS1_16__set_operations9doit_stepILb0ENS0_6detail15normal_iteratorINS0_10device_ptrIKiEEEESB_PiSC_lNS0_16discard_iteratorINS0_11use_defaultEEESC_NS0_4lessIiEENS4_23serial_set_intersectionEEE10hipError_tPvRmT0_T1_T2_T3_T4_SQ_T5_T6_PSQ_T7_T8_P12ihipStream_tbEUllE_jLj1EEEvSM_SN_SN_
		.amdhsa_group_segment_fixed_size 0
		.amdhsa_private_segment_fixed_size 0
		.amdhsa_kernarg_size 56
		.amdhsa_user_sgpr_count 15
		.amdhsa_user_sgpr_dispatch_ptr 0
		.amdhsa_user_sgpr_queue_ptr 0
		.amdhsa_user_sgpr_kernarg_segment_ptr 1
		.amdhsa_user_sgpr_dispatch_id 0
		.amdhsa_user_sgpr_private_segment_size 0
		.amdhsa_wavefront_size32 1
		.amdhsa_uses_dynamic_stack 0
		.amdhsa_enable_private_segment 0
		.amdhsa_system_sgpr_workgroup_id_x 1
		.amdhsa_system_sgpr_workgroup_id_y 0
		.amdhsa_system_sgpr_workgroup_id_z 0
		.amdhsa_system_sgpr_workgroup_info 0
		.amdhsa_system_vgpr_workitem_id 0
		.amdhsa_next_free_vgpr 25
		.amdhsa_next_free_sgpr 16
		.amdhsa_reserve_vcc 1
		.amdhsa_float_round_mode_32 0
		.amdhsa_float_round_mode_16_64 0
		.amdhsa_float_denorm_mode_32 3
		.amdhsa_float_denorm_mode_16_64 3
		.amdhsa_dx10_clamp 1
		.amdhsa_ieee_mode 1
		.amdhsa_fp16_overflow 0
		.amdhsa_workgroup_processor_mode 1
		.amdhsa_memory_ordered 1
		.amdhsa_forward_progress 0
		.amdhsa_shared_vgpr_count 0
		.amdhsa_exception_fp_ieee_invalid_op 0
		.amdhsa_exception_fp_denorm_src 0
		.amdhsa_exception_fp_ieee_div_zero 0
		.amdhsa_exception_fp_ieee_overflow 0
		.amdhsa_exception_fp_ieee_underflow 0
		.amdhsa_exception_fp_ieee_inexact 0
		.amdhsa_exception_int_div_zero 0
	.end_amdhsa_kernel
	.section	.text._ZN6thrust23THRUST_200600_302600_NS11hip_rocprim14__parallel_for6kernelILj256EZNS1_16__set_operations9doit_stepILb0ENS0_6detail15normal_iteratorINS0_10device_ptrIKiEEEESB_PiSC_lNS0_16discard_iteratorINS0_11use_defaultEEESC_NS0_4lessIiEENS4_23serial_set_intersectionEEE10hipError_tPvRmT0_T1_T2_T3_T4_SQ_T5_T6_PSQ_T7_T8_P12ihipStream_tbEUllE_jLj1EEEvSM_SN_SN_,"axG",@progbits,_ZN6thrust23THRUST_200600_302600_NS11hip_rocprim14__parallel_for6kernelILj256EZNS1_16__set_operations9doit_stepILb0ENS0_6detail15normal_iteratorINS0_10device_ptrIKiEEEESB_PiSC_lNS0_16discard_iteratorINS0_11use_defaultEEESC_NS0_4lessIiEENS4_23serial_set_intersectionEEE10hipError_tPvRmT0_T1_T2_T3_T4_SQ_T5_T6_PSQ_T7_T8_P12ihipStream_tbEUllE_jLj1EEEvSM_SN_SN_,comdat
.Lfunc_end28:
	.size	_ZN6thrust23THRUST_200600_302600_NS11hip_rocprim14__parallel_for6kernelILj256EZNS1_16__set_operations9doit_stepILb0ENS0_6detail15normal_iteratorINS0_10device_ptrIKiEEEESB_PiSC_lNS0_16discard_iteratorINS0_11use_defaultEEESC_NS0_4lessIiEENS4_23serial_set_intersectionEEE10hipError_tPvRmT0_T1_T2_T3_T4_SQ_T5_T6_PSQ_T7_T8_P12ihipStream_tbEUllE_jLj1EEEvSM_SN_SN_, .Lfunc_end28-_ZN6thrust23THRUST_200600_302600_NS11hip_rocprim14__parallel_for6kernelILj256EZNS1_16__set_operations9doit_stepILb0ENS0_6detail15normal_iteratorINS0_10device_ptrIKiEEEESB_PiSC_lNS0_16discard_iteratorINS0_11use_defaultEEESC_NS0_4lessIiEENS4_23serial_set_intersectionEEE10hipError_tPvRmT0_T1_T2_T3_T4_SQ_T5_T6_PSQ_T7_T8_P12ihipStream_tbEUllE_jLj1EEEvSM_SN_SN_
                                        ; -- End function
	.section	.AMDGPU.csdata,"",@progbits
; Kernel info:
; codeLenInByte = 5124
; NumSgprs: 18
; NumVgprs: 25
; ScratchSize: 0
; MemoryBound: 0
; FloatMode: 240
; IeeeMode: 1
; LDSByteSize: 0 bytes/workgroup (compile time only)
; SGPRBlocks: 2
; VGPRBlocks: 3
; NumSGPRsForWavesPerEU: 18
; NumVGPRsForWavesPerEU: 25
; Occupancy: 16
; WaveLimiterHint : 0
; COMPUTE_PGM_RSRC2:SCRATCH_EN: 0
; COMPUTE_PGM_RSRC2:USER_SGPR: 15
; COMPUTE_PGM_RSRC2:TRAP_HANDLER: 0
; COMPUTE_PGM_RSRC2:TGID_X_EN: 1
; COMPUTE_PGM_RSRC2:TGID_Y_EN: 0
; COMPUTE_PGM_RSRC2:TGID_Z_EN: 0
; COMPUTE_PGM_RSRC2:TIDIG_COMP_CNT: 0
	.section	.text._ZN6thrust23THRUST_200600_302600_NS11hip_rocprim16__set_operations22lookback_set_op_kernelIN7rocprim17ROCPRIM_400000_NS13kernel_configILj256ELj16ELj4294967295EEELb0ENS0_6detail15normal_iteratorINS0_10device_ptrIKiEEEESD_PiSE_lNS0_16discard_iteratorINS0_11use_defaultEEESE_NS0_4lessIiEENS2_23serial_set_intersectionENS5_6detail19lookback_scan_stateIlLb0ELb1EEEEEvT1_T2_T3_T4_T6_T7_T8_T9_PNS0_4pairIT5_SX_EEPSX_T10_NSL_16ordered_block_idIjEE,"axG",@progbits,_ZN6thrust23THRUST_200600_302600_NS11hip_rocprim16__set_operations22lookback_set_op_kernelIN7rocprim17ROCPRIM_400000_NS13kernel_configILj256ELj16ELj4294967295EEELb0ENS0_6detail15normal_iteratorINS0_10device_ptrIKiEEEESD_PiSE_lNS0_16discard_iteratorINS0_11use_defaultEEESE_NS0_4lessIiEENS2_23serial_set_intersectionENS5_6detail19lookback_scan_stateIlLb0ELb1EEEEEvT1_T2_T3_T4_T6_T7_T8_T9_PNS0_4pairIT5_SX_EEPSX_T10_NSL_16ordered_block_idIjEE,comdat
	.protected	_ZN6thrust23THRUST_200600_302600_NS11hip_rocprim16__set_operations22lookback_set_op_kernelIN7rocprim17ROCPRIM_400000_NS13kernel_configILj256ELj16ELj4294967295EEELb0ENS0_6detail15normal_iteratorINS0_10device_ptrIKiEEEESD_PiSE_lNS0_16discard_iteratorINS0_11use_defaultEEESE_NS0_4lessIiEENS2_23serial_set_intersectionENS5_6detail19lookback_scan_stateIlLb0ELb1EEEEEvT1_T2_T3_T4_T6_T7_T8_T9_PNS0_4pairIT5_SX_EEPSX_T10_NSL_16ordered_block_idIjEE ; -- Begin function _ZN6thrust23THRUST_200600_302600_NS11hip_rocprim16__set_operations22lookback_set_op_kernelIN7rocprim17ROCPRIM_400000_NS13kernel_configILj256ELj16ELj4294967295EEELb0ENS0_6detail15normal_iteratorINS0_10device_ptrIKiEEEESD_PiSE_lNS0_16discard_iteratorINS0_11use_defaultEEESE_NS0_4lessIiEENS2_23serial_set_intersectionENS5_6detail19lookback_scan_stateIlLb0ELb1EEEEEvT1_T2_T3_T4_T6_T7_T8_T9_PNS0_4pairIT5_SX_EEPSX_T10_NSL_16ordered_block_idIjEE
	.globl	_ZN6thrust23THRUST_200600_302600_NS11hip_rocprim16__set_operations22lookback_set_op_kernelIN7rocprim17ROCPRIM_400000_NS13kernel_configILj256ELj16ELj4294967295EEELb0ENS0_6detail15normal_iteratorINS0_10device_ptrIKiEEEESD_PiSE_lNS0_16discard_iteratorINS0_11use_defaultEEESE_NS0_4lessIiEENS2_23serial_set_intersectionENS5_6detail19lookback_scan_stateIlLb0ELb1EEEEEvT1_T2_T3_T4_T6_T7_T8_T9_PNS0_4pairIT5_SX_EEPSX_T10_NSL_16ordered_block_idIjEE
	.p2align	8
	.type	_ZN6thrust23THRUST_200600_302600_NS11hip_rocprim16__set_operations22lookback_set_op_kernelIN7rocprim17ROCPRIM_400000_NS13kernel_configILj256ELj16ELj4294967295EEELb0ENS0_6detail15normal_iteratorINS0_10device_ptrIKiEEEESD_PiSE_lNS0_16discard_iteratorINS0_11use_defaultEEESE_NS0_4lessIiEENS2_23serial_set_intersectionENS5_6detail19lookback_scan_stateIlLb0ELb1EEEEEvT1_T2_T3_T4_T6_T7_T8_T9_PNS0_4pairIT5_SX_EEPSX_T10_NSL_16ordered_block_idIjEE,@function
_ZN6thrust23THRUST_200600_302600_NS11hip_rocprim16__set_operations22lookback_set_op_kernelIN7rocprim17ROCPRIM_400000_NS13kernel_configILj256ELj16ELj4294967295EEELb0ENS0_6detail15normal_iteratorINS0_10device_ptrIKiEEEESD_PiSE_lNS0_16discard_iteratorINS0_11use_defaultEEESE_NS0_4lessIiEENS2_23serial_set_intersectionENS5_6detail19lookback_scan_stateIlLb0ELb1EEEEEvT1_T2_T3_T4_T6_T7_T8_T9_PNS0_4pairIT5_SX_EEPSX_T10_NSL_16ordered_block_idIjEE: ; @_ZN6thrust23THRUST_200600_302600_NS11hip_rocprim16__set_operations22lookback_set_op_kernelIN7rocprim17ROCPRIM_400000_NS13kernel_configILj256ELj16ELj4294967295EEELb0ENS0_6detail15normal_iteratorINS0_10device_ptrIKiEEEESD_PiSE_lNS0_16discard_iteratorINS0_11use_defaultEEESE_NS0_4lessIiEENS2_23serial_set_intersectionENS5_6detail19lookback_scan_stateIlLb0ELb1EEEEEvT1_T2_T3_T4_T6_T7_T8_T9_PNS0_4pairIT5_SX_EEPSX_T10_NSL_16ordered_block_idIjEE
; %bb.0:
	s_clause 0x2
	s_load_b32 s3, s[0:1], 0x6c
	s_load_b32 s2, s[0:1], 0x60
	s_load_b256 s[24:31], s[0:1], 0x40
	v_bfe_u32 v1, v0, 10, 10
	v_bfe_u32 v2, v0, 20, 10
	v_and_b32_e32 v16, 0x3ff, v0
	s_waitcnt lgkmcnt(0)
	s_lshr_b32 s4, s3, 16
	s_and_b32 s3, s3, 0xffff
	v_mad_u32_u24 v1, v2, s4, v1
	s_delay_alu instid0(VALU_DEP_1) | instskip(SKIP_2) | instid1(VALU_DEP_1)
	v_mul_lo_u32 v0, v1, s3
	v_sub_nc_u32_e32 v1, 0, v16
	s_mov_b32 s3, exec_lo
	v_cmpx_eq_u32_e64 v0, v1
	s_cbranch_execz .LBB29_4
; %bb.1:
	s_mov_b32 s5, exec_lo
	s_mov_b32 s4, exec_lo
	v_mbcnt_lo_u32_b32 v0, s5, 0
                                        ; implicit-def: $vgpr1
	s_delay_alu instid0(VALU_DEP_1)
	v_cmpx_eq_u32_e32 0, v0
	s_cbranch_execz .LBB29_3
; %bb.2:
	s_bcnt1_i32_b32 s5, s5
	s_delay_alu instid0(SALU_CYCLE_1)
	v_dual_mov_b32 v1, 0 :: v_dual_mov_b32 v2, s5
	global_atomic_add_u32 v1, v1, v2, s[30:31] glc
.LBB29_3:
	s_or_b32 exec_lo, exec_lo, s4
	s_waitcnt vmcnt(0)
	v_readfirstlane_b32 s4, v1
	s_delay_alu instid0(VALU_DEP_1)
	v_dual_mov_b32 v1, 0 :: v_dual_add_nc_u32 v0, s4, v0
	ds_store_b32 v1, v0 offset:36864
.LBB29_4:
	s_or_b32 exec_lo, exec_lo, s3
	v_mov_b32_e32 v4, 0
	s_waitcnt lgkmcnt(0)
	s_barrier
	buffer_gl0_inv
	s_add_i32 s6, s2, -1
	ds_load_b32 v8, v4 offset:36864
	s_waitcnt lgkmcnt(0)
	v_readfirstlane_b32 s30, v8
	v_cmp_le_i32_e32 vcc_lo, s6, v8
	s_delay_alu instid0(VALU_DEP_2) | instskip(NEXT) | instid1(SALU_CYCLE_1)
	s_ashr_i32 s31, s30, 31
	s_lshl_b64 s[4:5], s[30:31], 4
	s_delay_alu instid0(SALU_CYCLE_1)
	s_add_u32 s2, s24, s4
	s_addc_u32 s3, s25, s5
	s_and_b32 vcc_lo, exec_lo, vcc_lo
	s_clause 0x1
	global_load_b128 v[0:3], v4, s[2:3]
	global_load_b128 v[4:7], v4, s[2:3] offset:16
	s_load_b128 s[0:3], s[0:1], 0x0
	s_waitcnt vmcnt(1)
	v_readfirstlane_b32 s4, v0
	s_waitcnt vmcnt(0)
	v_sub_nc_u32_e32 v17, v6, v2
	v_lshlrev_b64 v[2:3], 2, v[2:3]
	v_readfirstlane_b32 s5, v4
	v_mov_b32_e32 v0, s4
	s_delay_alu instid0(VALU_DEP_2) | instskip(NEXT) | instid1(VALU_DEP_1)
	s_sub_i32 s23, s5, s4
	v_lshlrev_b64 v[0:1], 2, v[0:1]
	s_waitcnt lgkmcnt(0)
	s_delay_alu instid0(VALU_DEP_1) | instskip(NEXT) | instid1(VALU_DEP_1)
	v_add_co_u32 v20, s0, s0, v0
	v_add_co_ci_u32_e64 v21, s0, s1, v1, s0
	v_add_co_u32 v18, s0, s2, v2
	s_delay_alu instid0(VALU_DEP_1)
	v_add_co_ci_u32_e64 v19, s0, s3, v3, s0
	s_mov_b32 s0, -1
	s_cbranch_vccnz .LBB29_7
; %bb.5:
	s_and_b32 vcc_lo, exec_lo, s0
	s_cbranch_vccnz .LBB29_249
.LBB29_6:
	s_nop 0
	s_sendmsg sendmsg(MSG_DEALLOC_VGPRS)
	s_endpgm
.LBB29_7:
	v_add_nc_u32_e32 v23, s23, v17
	s_mov_b32 s0, exec_lo
                                        ; implicit-def: $vgpr0_vgpr1_vgpr2_vgpr3_vgpr4_vgpr5_vgpr6_vgpr7_vgpr8_vgpr9_vgpr10_vgpr11_vgpr12_vgpr13_vgpr14_vgpr15
	s_delay_alu instid0(VALU_DEP_1)
	v_cmpx_lt_i32_e64 v16, v23
	s_cbranch_execz .LBB29_9
; %bb.8:
	v_subrev_nc_u32_e32 v0, s23, v16
	v_lshlrev_b32_e32 v2, 2, v16
	s_delay_alu instid0(VALU_DEP_2) | instskip(NEXT) | instid1(VALU_DEP_2)
	v_ashrrev_i32_e32 v1, 31, v0
	v_add_co_u32 v2, vcc_lo, v20, v2
	v_add_co_ci_u32_e32 v3, vcc_lo, 0, v21, vcc_lo
	s_delay_alu instid0(VALU_DEP_3) | instskip(NEXT) | instid1(VALU_DEP_1)
	v_lshlrev_b64 v[0:1], 2, v[0:1]
	v_add_co_u32 v0, vcc_lo, v18, v0
	s_delay_alu instid0(VALU_DEP_2) | instskip(SKIP_1) | instid1(VALU_DEP_2)
	v_add_co_ci_u32_e32 v1, vcc_lo, v19, v1, vcc_lo
	v_cmp_gt_i32_e32 vcc_lo, s23, v16
	v_dual_cndmask_b32 v1, v1, v3 :: v_dual_cndmask_b32 v0, v0, v2
	global_load_b32 v0, v[0:1], off
.LBB29_9:
	s_or_b32 exec_lo, exec_lo, s0
	v_add_nc_u32_e32 v22, 0x100, v16
	s_mov_b32 s0, exec_lo
	s_delay_alu instid0(VALU_DEP_1)
	v_cmpx_lt_i32_e64 v22, v23
	s_cbranch_execz .LBB29_11
; %bb.10:
	s_ashr_i32 s1, s23, 31
	v_sub_co_u32 v24, s2, v16, s23
	s_delay_alu instid0(VALU_DEP_1) | instskip(SKIP_1) | instid1(VALU_DEP_2)
	v_sub_co_ci_u32_e64 v25, null, 0, s1, s2
	v_lshlrev_b32_e32 v1, 2, v16
	v_lshlrev_b64 v[24:25], 2, v[24:25]
	s_delay_alu instid0(VALU_DEP_2) | instskip(SKIP_1) | instid1(VALU_DEP_3)
	v_add_co_u32 v1, vcc_lo, v20, v1
	v_add_co_ci_u32_e32 v26, vcc_lo, 0, v21, vcc_lo
	v_add_co_u32 v24, vcc_lo, v18, v24
	s_delay_alu instid0(VALU_DEP_4) | instskip(SKIP_1) | instid1(VALU_DEP_2)
	v_add_co_ci_u32_e32 v25, vcc_lo, v19, v25, vcc_lo
	v_cmp_gt_i32_e32 vcc_lo, s23, v22
	v_dual_cndmask_b32 v25, v25, v26 :: v_dual_cndmask_b32 v24, v24, v1
	global_load_b32 v1, v[24:25], off offset:1024
.LBB29_11:
	s_or_b32 exec_lo, exec_lo, s0
	v_add_nc_u32_e32 v22, 0x200, v16
	s_mov_b32 s0, exec_lo
	s_delay_alu instid0(VALU_DEP_1)
	v_cmpx_lt_i32_e64 v22, v23
	s_cbranch_execz .LBB29_13
; %bb.12:
	s_ashr_i32 s1, s23, 31
	v_sub_co_u32 v24, s2, v16, s23
	s_delay_alu instid0(VALU_DEP_1) | instskip(SKIP_1) | instid1(VALU_DEP_2)
	v_sub_co_ci_u32_e64 v25, null, 0, s1, s2
	v_lshlrev_b32_e32 v2, 2, v16
	v_lshlrev_b64 v[24:25], 2, v[24:25]
	s_delay_alu instid0(VALU_DEP_2) | instskip(SKIP_1) | instid1(VALU_DEP_3)
	v_add_co_u32 v2, vcc_lo, v20, v2
	v_add_co_ci_u32_e32 v26, vcc_lo, 0, v21, vcc_lo
	v_add_co_u32 v24, vcc_lo, v18, v24
	s_delay_alu instid0(VALU_DEP_4) | instskip(SKIP_1) | instid1(VALU_DEP_2)
	v_add_co_ci_u32_e32 v25, vcc_lo, v19, v25, vcc_lo
	v_cmp_gt_i32_e32 vcc_lo, s23, v22
	v_cndmask_b32_e32 v25, v25, v26, vcc_lo
	s_delay_alu instid0(VALU_DEP_4)
	v_cndmask_b32_e32 v24, v24, v2, vcc_lo
	global_load_b32 v2, v[24:25], off offset:2048
.LBB29_13:
	s_or_b32 exec_lo, exec_lo, s0
	v_add_nc_u32_e32 v22, 0x300, v16
	s_mov_b32 s0, exec_lo
	s_delay_alu instid0(VALU_DEP_1)
	v_cmpx_lt_i32_e64 v22, v23
	s_cbranch_execz .LBB29_15
; %bb.14:
	s_ashr_i32 s1, s23, 31
	v_sub_co_u32 v24, s2, v16, s23
	s_delay_alu instid0(VALU_DEP_1) | instskip(SKIP_1) | instid1(VALU_DEP_2)
	v_sub_co_ci_u32_e64 v25, null, 0, s1, s2
	v_lshlrev_b32_e32 v3, 2, v16
	v_lshlrev_b64 v[24:25], 2, v[24:25]
	s_delay_alu instid0(VALU_DEP_2) | instskip(SKIP_1) | instid1(VALU_DEP_3)
	v_add_co_u32 v3, vcc_lo, v20, v3
	v_add_co_ci_u32_e32 v26, vcc_lo, 0, v21, vcc_lo
	v_add_co_u32 v24, vcc_lo, v18, v24
	s_delay_alu instid0(VALU_DEP_4) | instskip(SKIP_1) | instid1(VALU_DEP_2)
	v_add_co_ci_u32_e32 v25, vcc_lo, v19, v25, vcc_lo
	v_cmp_gt_i32_e32 vcc_lo, s23, v22
	v_dual_cndmask_b32 v25, v25, v26 :: v_dual_cndmask_b32 v24, v24, v3
	global_load_b32 v3, v[24:25], off offset:3072
.LBB29_15:
	s_or_b32 exec_lo, exec_lo, s0
	v_or_b32_e32 v22, 0x400, v16
	s_mov_b32 s0, exec_lo
	s_delay_alu instid0(VALU_DEP_1)
	v_cmpx_lt_i32_e64 v22, v23
	s_cbranch_execz .LBB29_17
; %bb.16:
	v_subrev_nc_u32_e32 v24, s23, v22
	v_lshlrev_b32_e32 v4, 2, v22
	s_delay_alu instid0(VALU_DEP_2) | instskip(NEXT) | instid1(VALU_DEP_2)
	v_ashrrev_i32_e32 v25, 31, v24
	v_add_co_u32 v4, vcc_lo, v20, v4
	v_add_co_ci_u32_e32 v26, vcc_lo, 0, v21, vcc_lo
	s_delay_alu instid0(VALU_DEP_3) | instskip(NEXT) | instid1(VALU_DEP_1)
	v_lshlrev_b64 v[24:25], 2, v[24:25]
	v_add_co_u32 v24, vcc_lo, v18, v24
	s_delay_alu instid0(VALU_DEP_2) | instskip(SKIP_1) | instid1(VALU_DEP_2)
	v_add_co_ci_u32_e32 v25, vcc_lo, v19, v25, vcc_lo
	v_cmp_gt_i32_e32 vcc_lo, s23, v22
	v_dual_cndmask_b32 v25, v25, v26 :: v_dual_cndmask_b32 v24, v24, v4
	global_load_b32 v4, v[24:25], off
.LBB29_17:
	s_or_b32 exec_lo, exec_lo, s0
	v_add_nc_u32_e32 v22, 0x500, v16
	s_mov_b32 s0, exec_lo
	s_delay_alu instid0(VALU_DEP_1)
	v_cmpx_lt_i32_e64 v22, v23
	s_cbranch_execz .LBB29_19
; %bb.18:
	v_subrev_nc_u32_e32 v24, s23, v22
	v_lshlrev_b32_e32 v5, 2, v22
	s_delay_alu instid0(VALU_DEP_2) | instskip(NEXT) | instid1(VALU_DEP_2)
	v_ashrrev_i32_e32 v25, 31, v24
	v_add_co_u32 v5, vcc_lo, v20, v5
	v_add_co_ci_u32_e32 v26, vcc_lo, 0, v21, vcc_lo
	s_delay_alu instid0(VALU_DEP_3) | instskip(NEXT) | instid1(VALU_DEP_1)
	v_lshlrev_b64 v[24:25], 2, v[24:25]
	v_add_co_u32 v24, vcc_lo, v18, v24
	s_delay_alu instid0(VALU_DEP_2) | instskip(SKIP_1) | instid1(VALU_DEP_2)
	v_add_co_ci_u32_e32 v25, vcc_lo, v19, v25, vcc_lo
	v_cmp_gt_i32_e32 vcc_lo, s23, v22
	v_dual_cndmask_b32 v25, v25, v26 :: v_dual_cndmask_b32 v24, v24, v5
	global_load_b32 v5, v[24:25], off
.LBB29_19:
	s_or_b32 exec_lo, exec_lo, s0
	v_add_nc_u32_e32 v22, 0x600, v16
	s_mov_b32 s0, exec_lo
	s_delay_alu instid0(VALU_DEP_1)
	v_cmpx_lt_i32_e64 v22, v23
	s_cbranch_execz .LBB29_21
; %bb.20:
	v_subrev_nc_u32_e32 v24, s23, v22
	v_lshlrev_b32_e32 v6, 2, v22
	s_delay_alu instid0(VALU_DEP_2) | instskip(NEXT) | instid1(VALU_DEP_2)
	v_ashrrev_i32_e32 v25, 31, v24
	v_add_co_u32 v6, vcc_lo, v20, v6
	v_add_co_ci_u32_e32 v26, vcc_lo, 0, v21, vcc_lo
	s_delay_alu instid0(VALU_DEP_3) | instskip(NEXT) | instid1(VALU_DEP_1)
	v_lshlrev_b64 v[24:25], 2, v[24:25]
	v_add_co_u32 v24, vcc_lo, v18, v24
	s_delay_alu instid0(VALU_DEP_2) | instskip(SKIP_1) | instid1(VALU_DEP_2)
	v_add_co_ci_u32_e32 v25, vcc_lo, v19, v25, vcc_lo
	v_cmp_gt_i32_e32 vcc_lo, s23, v22
	v_cndmask_b32_e32 v25, v25, v26, vcc_lo
	s_delay_alu instid0(VALU_DEP_4)
	v_cndmask_b32_e32 v24, v24, v6, vcc_lo
	global_load_b32 v6, v[24:25], off
.LBB29_21:
	s_or_b32 exec_lo, exec_lo, s0
	v_add_nc_u32_e32 v22, 0x700, v16
	s_mov_b32 s0, exec_lo
	s_delay_alu instid0(VALU_DEP_1)
	v_cmpx_lt_i32_e64 v22, v23
	s_cbranch_execz .LBB29_23
; %bb.22:
	v_subrev_nc_u32_e32 v24, s23, v22
	v_lshlrev_b32_e32 v7, 2, v22
	s_delay_alu instid0(VALU_DEP_2) | instskip(NEXT) | instid1(VALU_DEP_2)
	v_ashrrev_i32_e32 v25, 31, v24
	v_add_co_u32 v7, vcc_lo, v20, v7
	v_add_co_ci_u32_e32 v26, vcc_lo, 0, v21, vcc_lo
	s_delay_alu instid0(VALU_DEP_3) | instskip(NEXT) | instid1(VALU_DEP_1)
	v_lshlrev_b64 v[24:25], 2, v[24:25]
	v_add_co_u32 v24, vcc_lo, v18, v24
	s_delay_alu instid0(VALU_DEP_2) | instskip(SKIP_1) | instid1(VALU_DEP_2)
	v_add_co_ci_u32_e32 v25, vcc_lo, v19, v25, vcc_lo
	v_cmp_gt_i32_e32 vcc_lo, s23, v22
	v_dual_cndmask_b32 v25, v25, v26 :: v_dual_cndmask_b32 v24, v24, v7
	global_load_b32 v7, v[24:25], off
.LBB29_23:
	s_or_b32 exec_lo, exec_lo, s0
	v_or_b32_e32 v22, 0x800, v16
	s_mov_b32 s0, exec_lo
	s_delay_alu instid0(VALU_DEP_1)
	v_cmpx_lt_i32_e64 v22, v23
	s_cbranch_execz .LBB29_25
; %bb.24:
	v_subrev_nc_u32_e32 v24, s23, v22
	v_lshlrev_b32_e32 v8, 2, v22
	s_delay_alu instid0(VALU_DEP_2) | instskip(NEXT) | instid1(VALU_DEP_2)
	v_ashrrev_i32_e32 v25, 31, v24
	v_add_co_u32 v8, vcc_lo, v20, v8
	v_add_co_ci_u32_e32 v26, vcc_lo, 0, v21, vcc_lo
	s_delay_alu instid0(VALU_DEP_3) | instskip(NEXT) | instid1(VALU_DEP_1)
	v_lshlrev_b64 v[24:25], 2, v[24:25]
	v_add_co_u32 v24, vcc_lo, v18, v24
	s_delay_alu instid0(VALU_DEP_2) | instskip(SKIP_1) | instid1(VALU_DEP_2)
	v_add_co_ci_u32_e32 v25, vcc_lo, v19, v25, vcc_lo
	v_cmp_gt_i32_e32 vcc_lo, s23, v22
	v_dual_cndmask_b32 v25, v25, v26 :: v_dual_cndmask_b32 v24, v24, v8
	global_load_b32 v8, v[24:25], off
.LBB29_25:
	s_or_b32 exec_lo, exec_lo, s0
	v_add_nc_u32_e32 v22, 0x900, v16
	s_mov_b32 s0, exec_lo
	s_delay_alu instid0(VALU_DEP_1)
	v_cmpx_lt_i32_e64 v22, v23
	s_cbranch_execz .LBB29_27
; %bb.26:
	v_subrev_nc_u32_e32 v24, s23, v22
	v_lshlrev_b32_e32 v9, 2, v22
	s_delay_alu instid0(VALU_DEP_2) | instskip(NEXT) | instid1(VALU_DEP_2)
	v_ashrrev_i32_e32 v25, 31, v24
	v_add_co_u32 v9, vcc_lo, v20, v9
	v_add_co_ci_u32_e32 v26, vcc_lo, 0, v21, vcc_lo
	s_delay_alu instid0(VALU_DEP_3) | instskip(NEXT) | instid1(VALU_DEP_1)
	v_lshlrev_b64 v[24:25], 2, v[24:25]
	v_add_co_u32 v24, vcc_lo, v18, v24
	s_delay_alu instid0(VALU_DEP_2) | instskip(SKIP_1) | instid1(VALU_DEP_2)
	v_add_co_ci_u32_e32 v25, vcc_lo, v19, v25, vcc_lo
	v_cmp_gt_i32_e32 vcc_lo, s23, v22
	v_dual_cndmask_b32 v25, v25, v26 :: v_dual_cndmask_b32 v24, v24, v9
	global_load_b32 v9, v[24:25], off
.LBB29_27:
	s_or_b32 exec_lo, exec_lo, s0
	v_add_nc_u32_e32 v22, 0xa00, v16
	s_mov_b32 s0, exec_lo
	s_delay_alu instid0(VALU_DEP_1)
	v_cmpx_lt_i32_e64 v22, v23
	s_cbranch_execz .LBB29_29
; %bb.28:
	v_subrev_nc_u32_e32 v24, s23, v22
	v_lshlrev_b32_e32 v10, 2, v22
	s_delay_alu instid0(VALU_DEP_2) | instskip(NEXT) | instid1(VALU_DEP_2)
	v_ashrrev_i32_e32 v25, 31, v24
	v_add_co_u32 v10, vcc_lo, v20, v10
	v_add_co_ci_u32_e32 v26, vcc_lo, 0, v21, vcc_lo
	s_delay_alu instid0(VALU_DEP_3) | instskip(NEXT) | instid1(VALU_DEP_1)
	v_lshlrev_b64 v[24:25], 2, v[24:25]
	v_add_co_u32 v24, vcc_lo, v18, v24
	s_delay_alu instid0(VALU_DEP_2) | instskip(SKIP_1) | instid1(VALU_DEP_2)
	v_add_co_ci_u32_e32 v25, vcc_lo, v19, v25, vcc_lo
	v_cmp_gt_i32_e32 vcc_lo, s23, v22
	v_cndmask_b32_e32 v25, v25, v26, vcc_lo
	s_delay_alu instid0(VALU_DEP_4)
	v_cndmask_b32_e32 v24, v24, v10, vcc_lo
	global_load_b32 v10, v[24:25], off
.LBB29_29:
	s_or_b32 exec_lo, exec_lo, s0
	v_add_nc_u32_e32 v22, 0xb00, v16
	s_mov_b32 s0, exec_lo
	s_delay_alu instid0(VALU_DEP_1)
	v_cmpx_lt_i32_e64 v22, v23
	s_cbranch_execz .LBB29_31
; %bb.30:
	v_subrev_nc_u32_e32 v24, s23, v22
	v_lshlrev_b32_e32 v11, 2, v22
	s_delay_alu instid0(VALU_DEP_2) | instskip(NEXT) | instid1(VALU_DEP_2)
	v_ashrrev_i32_e32 v25, 31, v24
	v_add_co_u32 v11, vcc_lo, v20, v11
	v_add_co_ci_u32_e32 v26, vcc_lo, 0, v21, vcc_lo
	s_delay_alu instid0(VALU_DEP_3) | instskip(NEXT) | instid1(VALU_DEP_1)
	v_lshlrev_b64 v[24:25], 2, v[24:25]
	v_add_co_u32 v24, vcc_lo, v18, v24
	s_delay_alu instid0(VALU_DEP_2) | instskip(SKIP_1) | instid1(VALU_DEP_2)
	v_add_co_ci_u32_e32 v25, vcc_lo, v19, v25, vcc_lo
	v_cmp_gt_i32_e32 vcc_lo, s23, v22
	v_dual_cndmask_b32 v25, v25, v26 :: v_dual_cndmask_b32 v24, v24, v11
	global_load_b32 v11, v[24:25], off
.LBB29_31:
	s_or_b32 exec_lo, exec_lo, s0
	v_or_b32_e32 v22, 0xc00, v16
	s_mov_b32 s0, exec_lo
	s_delay_alu instid0(VALU_DEP_1)
	v_cmpx_lt_i32_e64 v22, v23
	s_cbranch_execz .LBB29_33
; %bb.32:
	v_subrev_nc_u32_e32 v24, s23, v22
	v_lshlrev_b32_e32 v12, 2, v22
	s_delay_alu instid0(VALU_DEP_2) | instskip(NEXT) | instid1(VALU_DEP_2)
	v_ashrrev_i32_e32 v25, 31, v24
	v_add_co_u32 v12, vcc_lo, v20, v12
	v_add_co_ci_u32_e32 v26, vcc_lo, 0, v21, vcc_lo
	s_delay_alu instid0(VALU_DEP_3) | instskip(NEXT) | instid1(VALU_DEP_1)
	v_lshlrev_b64 v[24:25], 2, v[24:25]
	v_add_co_u32 v24, vcc_lo, v18, v24
	s_delay_alu instid0(VALU_DEP_2) | instskip(SKIP_1) | instid1(VALU_DEP_2)
	v_add_co_ci_u32_e32 v25, vcc_lo, v19, v25, vcc_lo
	v_cmp_gt_i32_e32 vcc_lo, s23, v22
	v_dual_cndmask_b32 v25, v25, v26 :: v_dual_cndmask_b32 v24, v24, v12
	global_load_b32 v12, v[24:25], off
.LBB29_33:
	s_or_b32 exec_lo, exec_lo, s0
	v_add_nc_u32_e32 v22, 0xd00, v16
	s_mov_b32 s0, exec_lo
	s_delay_alu instid0(VALU_DEP_1)
	v_cmpx_lt_i32_e64 v22, v23
	s_cbranch_execz .LBB29_35
; %bb.34:
	v_subrev_nc_u32_e32 v24, s23, v22
	v_lshlrev_b32_e32 v13, 2, v22
	s_delay_alu instid0(VALU_DEP_2) | instskip(NEXT) | instid1(VALU_DEP_2)
	v_ashrrev_i32_e32 v25, 31, v24
	v_add_co_u32 v13, vcc_lo, v20, v13
	v_add_co_ci_u32_e32 v26, vcc_lo, 0, v21, vcc_lo
	s_delay_alu instid0(VALU_DEP_3) | instskip(NEXT) | instid1(VALU_DEP_1)
	v_lshlrev_b64 v[24:25], 2, v[24:25]
	v_add_co_u32 v24, vcc_lo, v18, v24
	s_delay_alu instid0(VALU_DEP_2) | instskip(SKIP_1) | instid1(VALU_DEP_2)
	v_add_co_ci_u32_e32 v25, vcc_lo, v19, v25, vcc_lo
	v_cmp_gt_i32_e32 vcc_lo, s23, v22
	v_dual_cndmask_b32 v25, v25, v26 :: v_dual_cndmask_b32 v24, v24, v13
	global_load_b32 v13, v[24:25], off
.LBB29_35:
	s_or_b32 exec_lo, exec_lo, s0
	v_add_nc_u32_e32 v22, 0xe00, v16
	s_mov_b32 s0, exec_lo
	s_delay_alu instid0(VALU_DEP_1)
	v_cmpx_lt_i32_e64 v22, v23
	s_cbranch_execz .LBB29_37
; %bb.36:
	v_subrev_nc_u32_e32 v24, s23, v22
	v_lshlrev_b32_e32 v14, 2, v22
	s_delay_alu instid0(VALU_DEP_2) | instskip(NEXT) | instid1(VALU_DEP_2)
	v_ashrrev_i32_e32 v25, 31, v24
	v_add_co_u32 v14, vcc_lo, v20, v14
	v_add_co_ci_u32_e32 v26, vcc_lo, 0, v21, vcc_lo
	s_delay_alu instid0(VALU_DEP_3) | instskip(NEXT) | instid1(VALU_DEP_1)
	v_lshlrev_b64 v[24:25], 2, v[24:25]
	v_add_co_u32 v24, vcc_lo, v18, v24
	s_delay_alu instid0(VALU_DEP_2) | instskip(SKIP_1) | instid1(VALU_DEP_2)
	v_add_co_ci_u32_e32 v25, vcc_lo, v19, v25, vcc_lo
	v_cmp_gt_i32_e32 vcc_lo, s23, v22
	v_cndmask_b32_e32 v25, v25, v26, vcc_lo
	s_delay_alu instid0(VALU_DEP_4)
	v_cndmask_b32_e32 v24, v24, v14, vcc_lo
	global_load_b32 v14, v[24:25], off
.LBB29_37:
	s_or_b32 exec_lo, exec_lo, s0
	v_add_nc_u32_e32 v22, 0xf00, v16
	s_mov_b32 s0, exec_lo
	s_delay_alu instid0(VALU_DEP_1)
	v_cmpx_lt_i32_e64 v22, v23
	s_cbranch_execz .LBB29_39
; %bb.38:
	v_subrev_nc_u32_e32 v24, s23, v22
	v_lshlrev_b32_e32 v15, 2, v22
	s_delay_alu instid0(VALU_DEP_2) | instskip(NEXT) | instid1(VALU_DEP_2)
	v_ashrrev_i32_e32 v25, 31, v24
	v_add_co_u32 v15, vcc_lo, v20, v15
	v_add_co_ci_u32_e32 v26, vcc_lo, 0, v21, vcc_lo
	s_delay_alu instid0(VALU_DEP_3) | instskip(NEXT) | instid1(VALU_DEP_1)
	v_lshlrev_b64 v[24:25], 2, v[24:25]
	v_add_co_u32 v24, vcc_lo, v18, v24
	s_delay_alu instid0(VALU_DEP_2) | instskip(SKIP_1) | instid1(VALU_DEP_2)
	v_add_co_ci_u32_e32 v25, vcc_lo, v19, v25, vcc_lo
	v_cmp_gt_i32_e32 vcc_lo, s23, v22
	v_dual_cndmask_b32 v25, v25, v26 :: v_dual_cndmask_b32 v24, v24, v15
	global_load_b32 v15, v[24:25], off
.LBB29_39:
	s_or_b32 exec_lo, exec_lo, s0
	v_lshlrev_b32_e32 v24, 4, v16
	v_lshlrev_b32_e32 v22, 2, v16
	s_lshl_b32 s0, s23, 2
	s_mov_b32 s2, 0
	s_addk_i32 s0, 0x4800
	v_min_i32_e32 v23, v23, v24
	s_waitcnt vmcnt(0)
	ds_store_2addr_stride64_b32 v22, v0, v1 offset0:76 offset1:80
	ds_store_2addr_stride64_b32 v22, v2, v3 offset0:84 offset1:88
	s_mov_b32 s1, exec_lo
	ds_store_2addr_stride64_b32 v22, v4, v5 offset0:92 offset1:96
	ds_store_2addr_stride64_b32 v22, v6, v7 offset0:100 offset1:104
	;; [unrolled: 1-line block ×6, first 2 shown]
	v_sub_nc_u32_e32 v0, v23, v17
	v_min_i32_e32 v1, s23, v23
	s_waitcnt lgkmcnt(0)
	s_barrier
	buffer_gl0_inv
	v_max_i32_e32 v0, 0, v0
	s_delay_alu instid0(VALU_DEP_1)
	v_cmpx_lt_i32_e64 v0, v1
	s_cbranch_execz .LBB29_43
; %bb.40:
	v_lshlrev_b32_e32 v2, 2, v23
	s_delay_alu instid0(VALU_DEP_1)
	v_add3_u32 v2, s0, v2, 0x400
	.p2align	6
.LBB29_41:                              ; =>This Inner Loop Header: Depth=1
	v_add_nc_u32_e32 v3, v1, v0
	s_delay_alu instid0(VALU_DEP_1) | instskip(NEXT) | instid1(VALU_DEP_1)
	v_ashrrev_i32_e32 v3, 1, v3
	v_not_b32_e32 v4, v3
	v_add_nc_u32_e32 v6, 1, v3
	v_lshlrev_b32_e32 v5, 2, v3
	s_delay_alu instid0(VALU_DEP_3)
	v_lshl_add_u32 v4, v4, 2, v2
	ds_load_b32 v5, v5 offset:19456
	ds_load_b32 v4, v4
	s_waitcnt lgkmcnt(0)
	v_cmp_lt_i32_e32 vcc_lo, v4, v5
	v_dual_cndmask_b32 v0, v6, v0 :: v_dual_cndmask_b32 v1, v1, v3
	s_delay_alu instid0(VALU_DEP_1) | instskip(SKIP_1) | instid1(SALU_CYCLE_1)
	v_cmp_ge_i32_e32 vcc_lo, v0, v1
	s_or_b32 s2, vcc_lo, s2
	s_and_not1_b32 exec_lo, exec_lo, s2
	s_cbranch_execnz .LBB29_41
; %bb.42:
	s_or_b32 exec_lo, exec_lo, s2
.LBB29_43:
	s_delay_alu instid0(SALU_CYCLE_1) | instskip(SKIP_3) | instid1(VALU_DEP_1)
	s_or_b32 exec_lo, exec_lo, s1
	v_dual_mov_b32 v2, 0 :: v_dual_add_nc_u32 v15, 0x4800, v22
	v_sub_nc_u32_e32 v3, v23, v0
	s_mov_b32 s1, exec_lo
	v_cmpx_lt_i32_e64 v3, v17
	s_cbranch_execz .LBB29_73
; %bb.44:
	v_lshl_add_u32 v4, v3, 2, s0
	v_mov_b32_e32 v1, 0
	v_mov_b32_e32 v5, v0
	s_mov_b32 s2, exec_lo
	ds_load_b32 v2, v4 offset:1024
	v_cmpx_lt_i32_e32 0, v0
	s_cbranch_execnz .LBB29_49
; %bb.45:
	s_or_b32 exec_lo, exec_lo, s2
	s_delay_alu instid0(SALU_CYCLE_1)
	s_mov_b32 s2, exec_lo
	v_cmpx_lt_i32_e64 v1, v5
	s_cbranch_execnz .LBB29_50
.LBB29_46:
	s_or_b32 exec_lo, exec_lo, s2
	s_delay_alu instid0(SALU_CYCLE_1)
	s_mov_b32 s2, exec_lo
	v_cmpx_lt_i32_e64 v1, v5
	s_cbranch_execnz .LBB29_51
.LBB29_47:
	s_or_b32 exec_lo, exec_lo, s2
	s_delay_alu instid0(SALU_CYCLE_1)
	s_mov_b32 s2, exec_lo
	v_cmpx_lt_i32_e64 v1, v5
	s_cbranch_execnz .LBB29_52
.LBB29_48:
	s_or_b32 exec_lo, exec_lo, s2
	s_delay_alu instid0(SALU_CYCLE_1)
	s_mov_b32 s2, exec_lo
	v_cmpx_lt_i32_e64 v1, v5
	s_cbranch_execnz .LBB29_53
	s_branch .LBB29_56
.LBB29_49:
	v_mul_lo_u32 v1, 0x1ff, v0
	s_delay_alu instid0(VALU_DEP_1) | instskip(NEXT) | instid1(VALU_DEP_1)
	v_ashrrev_i32_e32 v5, 9, v1
	v_lshlrev_b32_e32 v1, 2, v5
	ds_load_b32 v1, v1 offset:19456
	s_waitcnt lgkmcnt(0)
	v_cmp_lt_i32_e32 vcc_lo, v1, v2
	v_dual_cndmask_b32 v5, v5, v0 :: v_dual_add_nc_u32 v6, 1, v5
	s_delay_alu instid0(VALU_DEP_1) | instskip(SKIP_1) | instid1(SALU_CYCLE_1)
	v_cndmask_b32_e32 v1, 0, v6, vcc_lo
	s_or_b32 exec_lo, exec_lo, s2
	s_mov_b32 s2, exec_lo
	s_delay_alu instid0(VALU_DEP_1)
	v_cmpx_lt_i32_e64 v1, v5
	s_cbranch_execz .LBB29_46
.LBB29_50:
	v_sub_nc_u32_e32 v6, v1, v5
	s_delay_alu instid0(VALU_DEP_1) | instskip(NEXT) | instid1(VALU_DEP_1)
	v_lshl_add_u32 v6, v5, 7, v6
	v_ashrrev_i32_e32 v6, 7, v6
	s_delay_alu instid0(VALU_DEP_1) | instskip(SKIP_4) | instid1(VALU_DEP_1)
	v_lshlrev_b32_e32 v7, 2, v6
	ds_load_b32 v7, v7 offset:19456
	s_waitcnt lgkmcnt(0)
	v_cmp_lt_i32_e32 vcc_lo, v7, v2
	v_dual_cndmask_b32 v5, v6, v5 :: v_dual_add_nc_u32 v8, 1, v6
	v_cndmask_b32_e32 v1, v1, v8, vcc_lo
	s_or_b32 exec_lo, exec_lo, s2
	s_delay_alu instid0(SALU_CYCLE_1) | instskip(NEXT) | instid1(VALU_DEP_1)
	s_mov_b32 s2, exec_lo
	v_cmpx_lt_i32_e64 v1, v5
	s_cbranch_execz .LBB29_47
.LBB29_51:
	v_sub_nc_u32_e32 v6, v1, v5
	s_delay_alu instid0(VALU_DEP_1) | instskip(NEXT) | instid1(VALU_DEP_1)
	v_lshl_add_u32 v6, v5, 5, v6
	v_ashrrev_i32_e32 v6, 5, v6
	s_delay_alu instid0(VALU_DEP_1) | instskip(SKIP_4) | instid1(VALU_DEP_1)
	v_lshlrev_b32_e32 v7, 2, v6
	ds_load_b32 v7, v7 offset:19456
	s_waitcnt lgkmcnt(0)
	v_cmp_lt_i32_e32 vcc_lo, v7, v2
	v_dual_cndmask_b32 v5, v6, v5 :: v_dual_add_nc_u32 v8, 1, v6
	v_cndmask_b32_e32 v1, v1, v8, vcc_lo
	s_or_b32 exec_lo, exec_lo, s2
	s_delay_alu instid0(SALU_CYCLE_1) | instskip(NEXT) | instid1(VALU_DEP_1)
	s_mov_b32 s2, exec_lo
	v_cmpx_lt_i32_e64 v1, v5
	s_cbranch_execz .LBB29_48
.LBB29_52:
	v_sub_nc_u32_e32 v6, v1, v5
	s_delay_alu instid0(VALU_DEP_1) | instskip(NEXT) | instid1(VALU_DEP_1)
	v_lshl_add_u32 v6, v5, 4, v6
	v_ashrrev_i32_e32 v6, 4, v6
	s_delay_alu instid0(VALU_DEP_1) | instskip(SKIP_4) | instid1(VALU_DEP_1)
	v_lshlrev_b32_e32 v7, 2, v6
	ds_load_b32 v7, v7 offset:19456
	s_waitcnt lgkmcnt(0)
	v_cmp_lt_i32_e32 vcc_lo, v7, v2
	v_dual_cndmask_b32 v5, v6, v5 :: v_dual_add_nc_u32 v8, 1, v6
	v_cndmask_b32_e32 v1, v1, v8, vcc_lo
	s_or_b32 exec_lo, exec_lo, s2
	s_delay_alu instid0(SALU_CYCLE_1) | instskip(NEXT) | instid1(VALU_DEP_1)
	s_mov_b32 s2, exec_lo
	v_cmpx_lt_i32_e64 v1, v5
	s_cbranch_execz .LBB29_56
.LBB29_53:
	s_mov_b32 s3, 0
.LBB29_54:                              ; =>This Inner Loop Header: Depth=1
	v_sub_nc_u32_e32 v6, v1, v5
	s_delay_alu instid0(VALU_DEP_1) | instskip(NEXT) | instid1(VALU_DEP_1)
	v_lshl_add_u32 v6, v5, 1, v6
	v_ashrrev_i32_e32 v6, 1, v6
	s_delay_alu instid0(VALU_DEP_1) | instskip(SKIP_4) | instid1(VALU_DEP_1)
	v_lshlrev_b32_e32 v7, 2, v6
	ds_load_b32 v7, v7 offset:19456
	s_waitcnt lgkmcnt(0)
	v_cmp_lt_i32_e32 vcc_lo, v7, v2
	v_dual_cndmask_b32 v5, v6, v5 :: v_dual_add_nc_u32 v8, 1, v6
	v_cndmask_b32_e32 v1, v1, v8, vcc_lo
	s_delay_alu instid0(VALU_DEP_1) | instskip(SKIP_1) | instid1(SALU_CYCLE_1)
	v_cmp_ge_i32_e32 vcc_lo, v1, v5
	s_or_b32 s3, vcc_lo, s3
	s_and_not1_b32 exec_lo, exec_lo, s3
	s_cbranch_execnz .LBB29_54
; %bb.55:
	s_or_b32 exec_lo, exec_lo, s3
.LBB29_56:
	s_delay_alu instid0(SALU_CYCLE_1)
	s_or_b32 exec_lo, exec_lo, s2
	v_dual_mov_b32 v5, 0 :: v_dual_add_nc_u32 v4, 0x400, v4
	v_mov_b32_e32 v6, v3
	s_mov_b32 s2, exec_lo
	v_cmpx_lt_i32_e32 0, v3
	s_cbranch_execnz .LBB29_61
; %bb.57:
	s_or_b32 exec_lo, exec_lo, s2
	s_delay_alu instid0(SALU_CYCLE_1)
	s_mov_b32 s2, exec_lo
	v_cmpx_lt_i32_e64 v5, v6
	s_cbranch_execnz .LBB29_62
.LBB29_58:
	s_or_b32 exec_lo, exec_lo, s2
	s_delay_alu instid0(SALU_CYCLE_1)
	s_mov_b32 s2, exec_lo
	v_cmpx_lt_i32_e64 v5, v6
	s_cbranch_execnz .LBB29_63
.LBB29_59:
	s_or_b32 exec_lo, exec_lo, s2
	s_delay_alu instid0(SALU_CYCLE_1)
	s_mov_b32 s2, exec_lo
	v_cmpx_lt_i32_e64 v5, v6
	s_cbranch_execnz .LBB29_64
.LBB29_60:
	s_or_b32 exec_lo, exec_lo, s2
	s_delay_alu instid0(SALU_CYCLE_1)
	s_mov_b32 s2, exec_lo
	v_cmpx_lt_i32_e64 v5, v6
	s_cbranch_execnz .LBB29_65
	s_branch .LBB29_68
.LBB29_61:
	v_mul_lo_u32 v5, 0x1ff, v3
	s_delay_alu instid0(VALU_DEP_1) | instskip(NEXT) | instid1(VALU_DEP_1)
	v_ashrrev_i32_e32 v6, 9, v5
	v_lshl_add_u32 v5, v6, 2, s0
	ds_load_b32 v5, v5 offset:1024
	s_waitcnt lgkmcnt(0)
	v_cmp_lt_i32_e32 vcc_lo, v5, v2
	v_dual_cndmask_b32 v6, v6, v3 :: v_dual_add_nc_u32 v7, 1, v6
	s_delay_alu instid0(VALU_DEP_1) | instskip(SKIP_1) | instid1(SALU_CYCLE_1)
	v_cndmask_b32_e32 v5, 0, v7, vcc_lo
	s_or_b32 exec_lo, exec_lo, s2
	s_mov_b32 s2, exec_lo
	s_delay_alu instid0(VALU_DEP_1)
	v_cmpx_lt_i32_e64 v5, v6
	s_cbranch_execz .LBB29_58
.LBB29_62:
	v_sub_nc_u32_e32 v7, v5, v6
	s_delay_alu instid0(VALU_DEP_1) | instskip(NEXT) | instid1(VALU_DEP_1)
	v_lshl_add_u32 v7, v6, 7, v7
	v_ashrrev_i32_e32 v7, 7, v7
	s_delay_alu instid0(VALU_DEP_1) | instskip(SKIP_4) | instid1(VALU_DEP_1)
	v_lshl_add_u32 v8, v7, 2, s0
	ds_load_b32 v8, v8 offset:1024
	s_waitcnt lgkmcnt(0)
	v_cmp_lt_i32_e32 vcc_lo, v8, v2
	v_dual_cndmask_b32 v6, v7, v6 :: v_dual_add_nc_u32 v9, 1, v7
	v_cndmask_b32_e32 v5, v5, v9, vcc_lo
	s_or_b32 exec_lo, exec_lo, s2
	s_delay_alu instid0(SALU_CYCLE_1) | instskip(NEXT) | instid1(VALU_DEP_1)
	s_mov_b32 s2, exec_lo
	v_cmpx_lt_i32_e64 v5, v6
	s_cbranch_execz .LBB29_59
.LBB29_63:
	v_sub_nc_u32_e32 v7, v5, v6
	s_delay_alu instid0(VALU_DEP_1) | instskip(NEXT) | instid1(VALU_DEP_1)
	v_lshl_add_u32 v7, v6, 5, v7
	v_ashrrev_i32_e32 v7, 5, v7
	s_delay_alu instid0(VALU_DEP_1) | instskip(SKIP_4) | instid1(VALU_DEP_1)
	v_lshl_add_u32 v8, v7, 2, s0
	ds_load_b32 v8, v8 offset:1024
	s_waitcnt lgkmcnt(0)
	v_cmp_lt_i32_e32 vcc_lo, v8, v2
	v_dual_cndmask_b32 v6, v7, v6 :: v_dual_add_nc_u32 v9, 1, v7
	v_cndmask_b32_e32 v5, v5, v9, vcc_lo
	s_or_b32 exec_lo, exec_lo, s2
	s_delay_alu instid0(SALU_CYCLE_1) | instskip(NEXT) | instid1(VALU_DEP_1)
	s_mov_b32 s2, exec_lo
	v_cmpx_lt_i32_e64 v5, v6
	s_cbranch_execz .LBB29_60
.LBB29_64:
	v_sub_nc_u32_e32 v7, v5, v6
	s_delay_alu instid0(VALU_DEP_1) | instskip(NEXT) | instid1(VALU_DEP_1)
	v_lshl_add_u32 v7, v6, 4, v7
	v_ashrrev_i32_e32 v7, 4, v7
	s_delay_alu instid0(VALU_DEP_1) | instskip(SKIP_4) | instid1(VALU_DEP_1)
	v_lshl_add_u32 v8, v7, 2, s0
	ds_load_b32 v8, v8 offset:1024
	s_waitcnt lgkmcnt(0)
	v_cmp_lt_i32_e32 vcc_lo, v8, v2
	v_dual_cndmask_b32 v6, v7, v6 :: v_dual_add_nc_u32 v9, 1, v7
	v_cndmask_b32_e32 v5, v5, v9, vcc_lo
	s_or_b32 exec_lo, exec_lo, s2
	s_delay_alu instid0(SALU_CYCLE_1) | instskip(NEXT) | instid1(VALU_DEP_1)
	s_mov_b32 s2, exec_lo
	v_cmpx_lt_i32_e64 v5, v6
	s_cbranch_execz .LBB29_68
.LBB29_65:
	s_add_i32 s3, s0, 0x400
	s_mov_b32 s0, 0
.LBB29_66:                              ; =>This Inner Loop Header: Depth=1
	v_sub_nc_u32_e32 v7, v5, v6
	s_delay_alu instid0(VALU_DEP_1) | instskip(NEXT) | instid1(VALU_DEP_1)
	v_lshl_add_u32 v7, v6, 1, v7
	v_ashrrev_i32_e32 v7, 1, v7
	s_delay_alu instid0(VALU_DEP_1) | instskip(SKIP_4) | instid1(VALU_DEP_1)
	v_lshl_add_u32 v8, v7, 2, s3
	ds_load_b32 v8, v8
	s_waitcnt lgkmcnt(0)
	v_cmp_lt_i32_e32 vcc_lo, v8, v2
	v_dual_cndmask_b32 v6, v7, v6 :: v_dual_add_nc_u32 v9, 1, v7
	v_cndmask_b32_e32 v5, v5, v9, vcc_lo
	s_delay_alu instid0(VALU_DEP_1) | instskip(SKIP_1) | instid1(SALU_CYCLE_1)
	v_cmp_ge_i32_e32 vcc_lo, v5, v6
	s_or_b32 s0, vcc_lo, s0
	s_and_not1_b32 exec_lo, exec_lo, s0
	s_cbranch_execnz .LBB29_66
; %bb.67:
	s_or_b32 exec_lo, exec_lo, s0
.LBB29_68:
	s_delay_alu instid0(SALU_CYCLE_1) | instskip(SKIP_4) | instid1(VALU_DEP_1)
	s_or_b32 exec_lo, exec_lo, s2
	v_sub_nc_u32_e32 v0, v0, v1
	v_sub_nc_u32_e32 v7, v3, v5
	s_mov_b32 s2, 0
	s_mov_b32 s0, exec_lo
	v_add_nc_u32_e32 v6, v7, v0
	s_delay_alu instid0(VALU_DEP_1) | instskip(NEXT) | instid1(VALU_DEP_1)
	v_ashrrev_i32_e32 v0, 1, v6
	v_max_i32_e32 v0, v0, v7
	s_delay_alu instid0(VALU_DEP_1) | instskip(NEXT) | instid1(VALU_DEP_1)
	v_add3_u32 v5, v5, v0, 1
	v_min_i32_e32 v5, v5, v17
	s_delay_alu instid0(VALU_DEP_1) | instskip(SKIP_1) | instid1(VALU_DEP_2)
	v_sub_nc_u32_e32 v5, v5, v3
	v_mov_b32_e32 v3, 0
	v_cmpx_lt_i32_e32 0, v5
	s_cbranch_execz .LBB29_72
; %bb.69:
	v_mov_b32_e32 v3, 0
.LBB29_70:                              ; =>This Inner Loop Header: Depth=1
	s_delay_alu instid0(VALU_DEP_1) | instskip(NEXT) | instid1(VALU_DEP_1)
	v_add_nc_u32_e32 v8, v3, v5
	v_ashrrev_i32_e32 v8, 1, v8
	s_delay_alu instid0(VALU_DEP_1)
	v_lshl_add_u32 v9, v8, 2, v4
	v_add_nc_u32_e32 v10, 1, v8
	ds_load_b32 v9, v9
	s_waitcnt lgkmcnt(0)
	v_cmp_gt_i32_e32 vcc_lo, v9, v2
	v_cndmask_b32_e32 v3, v10, v3, vcc_lo
	v_cndmask_b32_e32 v5, v5, v8, vcc_lo
	s_delay_alu instid0(VALU_DEP_1) | instskip(SKIP_1) | instid1(SALU_CYCLE_1)
	v_cmp_ge_i32_e32 vcc_lo, v3, v5
	s_or_b32 s2, vcc_lo, s2
	s_and_not1_b32 exec_lo, exec_lo, s2
	s_cbranch_execnz .LBB29_70
; %bb.71:
	s_or_b32 exec_lo, exec_lo, s2
.LBB29_72:
	s_delay_alu instid0(SALU_CYCLE_1) | instskip(SKIP_2) | instid1(VALU_DEP_1)
	s_or_b32 exec_lo, exec_lo, s0
	s_waitcnt lgkmcnt(0)
	v_add_nc_u32_e32 v2, v3, v7
	v_min_i32_e32 v3, v2, v0
	v_cmp_lt_i32_e32 vcc_lo, v0, v2
	s_delay_alu instid0(VALU_DEP_2) | instskip(SKIP_1) | instid1(VALU_DEP_2)
	v_sub_nc_u32_e32 v4, v6, v3
	v_add_nc_u32_e32 v3, 1, v3
	v_add_nc_u32_e32 v0, v4, v1
	s_delay_alu instid0(VALU_DEP_2) | instskip(NEXT) | instid1(VALU_DEP_1)
	v_cmp_eq_u32_e64 s0, v4, v3
	s_and_b32 s0, vcc_lo, s0
	s_delay_alu instid0(SALU_CYCLE_1)
	v_cndmask_b32_e64 v2, 0, 1, s0
.LBB29_73:
	s_or_b32 exec_lo, exec_lo, s1
	s_delay_alu instid0(VALU_DEP_1)
	v_add_nc_u32_e32 v1, v2, v23
	s_lshl_b32 s0, s23, 16
	v_add_nc_u32_e32 v2, -1, v16
	v_or_b32_e32 v3, s0, v17
	v_cmp_eq_u32_e64 s0, 0, v16
	v_sub_nc_u32_e32 v1, v1, v0
	v_lshlrev_b32_e32 v5, 2, v0
	s_mov_b32 s1, exec_lo
	s_delay_alu instid0(VALU_DEP_2) | instskip(NEXT) | instid1(VALU_DEP_1)
	v_lshl_or_b32 v4, v0, 16, v1
	v_cndmask_b32_e64 v3, v4, v3, s0
	v_cndmask_b32_e64 v4, v2, 0xff, s0
	v_add_nc_u32_e32 v2, s23, v1
	s_delay_alu instid0(VALU_DEP_2) | instskip(NEXT) | instid1(VALU_DEP_2)
	v_lshlrev_b32_e32 v4, 2, v4
	v_lshlrev_b32_e32 v6, 2, v2
	ds_store_b32 v4, v3 offset:18432
	s_waitcnt lgkmcnt(0)
	s_barrier
	buffer_gl0_inv
	ds_load_b32 v24, v5 offset:19456
	ds_load_b32 v3, v6 offset:19456
	ds_load_b32 v11, v15
	v_mov_b32_e32 v4, v0
	s_waitcnt lgkmcnt(2)
	v_mov_b32_e32 v23, v24
	s_waitcnt lgkmcnt(1)
	v_cmpx_ge_i32_e64 v3, v24
	s_cbranch_execz .LBB29_75
; %bb.74:
	ds_load_b32 v23, v5 offset:19460
	v_add_nc_u32_e32 v4, 1, v0
.LBB29_75:
	s_or_b32 exec_lo, exec_lo, s1
	v_mov_b32_e32 v5, v3
	s_mov_b32 s1, exec_lo
	v_cmpx_ge_i32_e64 v24, v3
	s_cbranch_execz .LBB29_77
; %bb.76:
	ds_load_b32 v5, v6 offset:19460
	v_add_nc_u32_e32 v2, 1, v2
.LBB29_77:
	s_or_b32 exec_lo, exec_lo, s1
	s_waitcnt lgkmcnt(0)
	v_dual_mov_b32 v25, v23 :: v_dual_mov_b32 v6, v4
	s_mov_b32 s1, exec_lo
	v_cmpx_ge_i32_e64 v5, v23
	s_cbranch_execz .LBB29_79
; %bb.78:
	v_lshlrev_b32_e32 v6, 2, v4
	ds_load_b32 v25, v6 offset:19460
	v_add_nc_u32_e32 v6, 1, v4
.LBB29_79:
	s_or_b32 exec_lo, exec_lo, s1
	v_dual_mov_b32 v7, v5 :: v_dual_mov_b32 v8, v2
	s_mov_b32 s1, exec_lo
	v_cmpx_ge_i32_e64 v23, v5
	s_cbranch_execz .LBB29_81
; %bb.80:
	v_lshlrev_b32_e32 v7, 2, v2
	v_add_nc_u32_e32 v8, 1, v2
	ds_load_b32 v7, v7 offset:19460
.LBB29_81:
	s_or_b32 exec_lo, exec_lo, s1
	s_waitcnt lgkmcnt(0)
	v_dual_mov_b32 v26, v25 :: v_dual_mov_b32 v9, v6
	s_mov_b32 s1, exec_lo
	v_cmpx_ge_i32_e64 v7, v25
	s_cbranch_execz .LBB29_83
; %bb.82:
	v_lshlrev_b32_e32 v9, 2, v6
	ds_load_b32 v26, v9 offset:19460
	v_add_nc_u32_e32 v9, 1, v6
.LBB29_83:
	s_or_b32 exec_lo, exec_lo, s1
	v_mov_b32_e32 v10, v7
	v_mov_b32_e32 v12, v8
	s_mov_b32 s1, exec_lo
	v_cmpx_ge_i32_e64 v25, v7
	s_cbranch_execz .LBB29_85
; %bb.84:
	v_lshlrev_b32_e32 v10, 2, v8
	v_add_nc_u32_e32 v12, 1, v8
	ds_load_b32 v10, v10 offset:19460
.LBB29_85:
	s_or_b32 exec_lo, exec_lo, s1
	s_waitcnt lgkmcnt(0)
	v_mov_b32_e32 v27, v26
	v_mov_b32_e32 v13, v9
	s_mov_b32 s1, exec_lo
	v_cmpx_ge_i32_e64 v10, v26
	s_cbranch_execz .LBB29_87
; %bb.86:
	v_lshlrev_b32_e32 v13, 2, v9
	ds_load_b32 v27, v13 offset:19460
	v_add_nc_u32_e32 v13, 1, v9
.LBB29_87:
	s_or_b32 exec_lo, exec_lo, s1
	v_dual_mov_b32 v14, v10 :: v_dual_mov_b32 v39, v12
	s_mov_b32 s1, exec_lo
	v_cmpx_ge_i32_e64 v26, v10
	s_cbranch_execz .LBB29_89
; %bb.88:
	v_lshlrev_b32_e32 v14, 2, v12
	v_add_nc_u32_e32 v39, 1, v12
	ds_load_b32 v14, v14 offset:19460
.LBB29_89:
	s_or_b32 exec_lo, exec_lo, s1
	s_waitcnt lgkmcnt(0)
	v_mov_b32_e32 v28, v27
	v_mov_b32_e32 v40, v13
	s_mov_b32 s1, exec_lo
	v_cmpx_ge_i32_e64 v14, v27
	s_cbranch_execz .LBB29_91
; %bb.90:
	v_lshlrev_b32_e32 v28, 2, v13
	v_add_nc_u32_e32 v40, 1, v13
	ds_load_b32 v28, v28 offset:19460
.LBB29_91:
	s_or_b32 exec_lo, exec_lo, s1
	v_dual_mov_b32 v41, v14 :: v_dual_mov_b32 v42, v39
	s_mov_b32 s1, exec_lo
	v_cmpx_ge_i32_e64 v27, v14
	s_cbranch_execz .LBB29_93
; %bb.92:
	v_lshlrev_b32_e32 v29, 2, v39
	v_add_nc_u32_e32 v42, 1, v39
	ds_load_b32 v41, v29 offset:19460
.LBB29_93:
	s_or_b32 exec_lo, exec_lo, s1
	s_waitcnt lgkmcnt(0)
	v_mov_b32_e32 v29, v28
	v_mov_b32_e32 v43, v40
	s_mov_b32 s1, exec_lo
	v_cmpx_ge_i32_e64 v41, v28
	s_cbranch_execz .LBB29_95
; %bb.94:
	v_lshlrev_b32_e32 v29, 2, v40
	v_add_nc_u32_e32 v43, 1, v40
	ds_load_b32 v29, v29 offset:19460
.LBB29_95:
	;; [unrolled: 22-line block ×11, first 2 shown]
	s_or_b32 exec_lo, exec_lo, s1
	v_dual_mov_b32 v72, v69 :: v_dual_mov_b32 v71, v68
	s_mov_b32 s1, exec_lo
	v_cmpx_ge_i32_e64 v37, v69
	s_cbranch_execz .LBB29_133
; %bb.132:
	v_lshlrev_b32_e32 v71, 2, v68
	ds_load_b32 v72, v71 offset:19460
	v_add_nc_u32_e32 v71, 1, v68
.LBB29_133:
	s_or_b32 exec_lo, exec_lo, s1
	v_and_b32_e32 v73, 0xffff, v11
	v_ashrrev_i32_e32 v11, 16, v11
	v_cmp_ne_u32_e64 s1, v69, v37
	v_cmp_ne_u32_e64 s17, v44, v29
	;; [unrolled: 1-line block ×3, first 2 shown]
	v_add_nc_u32_e32 v69, s23, v73
	v_cmp_ge_i32_e64 s14, v40, v11
	v_cmp_ge_i32_e64 s18, v9, v11
	;; [unrolled: 1-line block ×3, first 2 shown]
	v_cmp_gt_i32_e64 s22, v73, v1
	v_cmp_ge_i32_e64 s15, v42, v69
	v_cmp_ge_i32_e64 s19, v12, v69
	;; [unrolled: 1-line block ×5, first 2 shown]
	s_or_b32 s39, s14, s15
	v_cmp_ge_i32_e64 s14, v13, v11
	v_cmp_ge_i32_e64 s15, v39, v69
	s_or_b32 s41, s18, s19
	s_or_b32 s24, s20, s21
	v_cmp_ge_i32_e64 s19, v4, v11
	v_cmp_ge_i32_e64 s20, v2, v69
	s_or_b32 s40, s14, s15
	v_cmp_ne_u32_e64 s15, v7, v25
	v_cmp_gt_i32_e64 s21, v11, v0
	v_cmp_ne_u32_e64 s18, v5, v23
	s_or_b32 s19, s19, s20
	v_cmp_ge_i32_e64 s4, v67, v11
	s_or_b32 s24, s15, s24
	v_cmp_eq_u32_e64 s15, v3, v24
	s_and_b32 s20, s21, s22
	v_cmp_ge_i32_e64 s5, v64, v11
	v_cmp_ge_i32_e64 s7, v68, v69
	;; [unrolled: 1-line block ×5, first 2 shown]
	s_or_b32 s38, s12, s13
	v_cmp_ne_u32_e64 s13, v14, v27
	v_cmp_ne_u32_e64 s14, v10, v26
	s_or_b32 s18, s18, s19
	s_and_b32 s15, s20, s15
	v_cndmask_b32_e64 v0, 4, 0, s24
	v_cndmask_b32_e64 v1, 2, 0, s18
	;; [unrolled: 1-line block ×3, first 2 shown]
	v_cmp_ge_i32_e64 s3, v70, v11
	v_cmp_ge_i32_e64 s6, v71, v69
	s_or_b32 s31, s4, s7
	s_or_b32 s33, s5, s8
	s_or_b32 s34, s9, s10
	v_cmp_ge_i32_e64 s7, v55, v11
	v_cmp_ge_i32_e64 s8, v57, v69
	;; [unrolled: 1-line block ×4, first 2 shown]
	v_cmp_ne_u32_e64 s12, v41, v28
	s_or_b32 s13, s13, s40
	s_or_b32 s14, s14, s41
	v_cndmask_b32_e64 v3, 16, 0, s13
	v_cndmask_b32_e64 v4, 8, 0, s14
	v_or3_b32 v0, v1, v2, v0
	s_or_b32 s25, s3, s6
	v_cmp_ge_i32_e64 s5, v58, v11
	v_cmp_ge_i32_e64 s6, v60, v69
	;; [unrolled: 1-line block ×4, first 2 shown]
	s_or_b32 s36, s7, s8
	s_or_b32 s37, s9, s10
	v_cmp_ge_i32_e64 s8, v49, v11
	v_cmp_ge_i32_e64 s9, v51, v69
	v_cmp_ne_u32_e64 s10, v48, v30
	s_or_b32 s17, s17, s38
	s_or_b32 s12, s12, s39
	v_cndmask_b32_e64 v1, 64, 0, s17
	v_cndmask_b32_e64 v2, 32, 0, s12
	v_or3_b32 v0, v0, v4, v3
	s_or_b32 s35, s5, s6
	v_cmp_ne_u32_e64 s6, v53, v32
	s_or_b32 s11, s11, s16
	v_cmp_ne_u32_e64 s7, v50, v31
	s_or_b32 s8, s8, s9
	s_or_b32 s9, s10, s11
	v_or3_b32 v44, v0, v2, v1
	v_cndmask_b32_e64 v3, 0x80, 0, s9
	v_cmp_ne_u32_e64 s4, v59, v34
	s_or_b32 s6, s6, s37
	v_cmp_ne_u32_e64 s5, v56, v33
	v_cndmask_b32_e64 v0, 0x200, 0, s6
	s_or_b32 s6, s7, s8
	v_or_b32_e32 v43, v3, v44
	v_cndmask_b32_e64 v1, 0x100, 0, s6
	s_or_b32 s4, s4, s35
	v_cmp_ne_u32_e64 s3, v62, v35
	v_cndmask_b32_e64 v2, 0x800, 0, s4
	s_or_b32 s4, s5, s36
	v_or3_b32 v42, v1, v0, v43
	v_cndmask_b32_e64 v3, 0x400, 0, s4
	s_or_b32 s2, s2, s33
	s_waitcnt lgkmcnt(0)
	v_cmp_ne_u32_e32 vcc_lo, v72, v38
	v_cndmask_b32_e64 v0, 0x2000, 0, s2
	s_or_b32 s2, s3, s34
	v_or3_b32 v41, v3, v2, v42
	v_cndmask_b32_e64 v1, 0x1000, 0, s2
	s_or_b32 s2, vcc_lo, s25
	s_or_b32 s1, s1, s31
	v_cndmask_b32_e64 v2, 0x8000, 0, s2
	v_cndmask_b32_e64 v3, 0x4000, 0, s1
	v_or3_b32 v40, v1, v0, v41
	v_mov_b32_e32 v9, 0
	s_mov_b32 s1, -1
	s_cmp_lg_u32 s30, 0
	s_delay_alu instid0(VALU_DEP_2)
	v_or3_b32 v39, v3, v2, v40
	s_barrier
	buffer_gl0_inv
	v_bcnt_u32_b32 v8, v39, 0
	s_cbranch_scc0 .LBB29_195
; %bb.134:
	v_mbcnt_lo_u32_b32 v45, -1, 0
	s_delay_alu instid0(VALU_DEP_2)
	v_mov_b32_dpp v6, v8 row_shr:1 row_mask:0xf bank_mask:0xf
	v_mov_b32_dpp v5, v9 row_shr:1 row_mask:0xf bank_mask:0xf
	v_mov_b32_e32 v2, v9
	v_dual_mov_b32 v0, v8 :: v_dual_mov_b32 v1, v9
	v_dual_mov_b32 v3, v8 :: v_dual_and_b32 v4, 15, v45
	s_mov_b32 s1, exec_lo
	s_delay_alu instid0(VALU_DEP_1)
	v_cmpx_ne_u32_e32 0, v4
; %bb.135:
	v_add_co_u32 v3, s2, v6, v8
	s_delay_alu instid0(VALU_DEP_1) | instskip(NEXT) | instid1(VALU_DEP_2)
	v_add_co_ci_u32_e64 v0, null, 0, 0, s2
	v_add_co_u32 v1, vcc_lo, 0, v3
	s_delay_alu instid0(VALU_DEP_2) | instskip(NEXT) | instid1(VALU_DEP_2)
	v_add_co_ci_u32_e32 v2, vcc_lo, v5, v0, vcc_lo
	v_mov_b32_e32 v0, v1
	s_delay_alu instid0(VALU_DEP_2)
	v_mov_b32_e32 v1, v2
; %bb.136:
	s_or_b32 exec_lo, exec_lo, s1
	v_mov_b32_dpp v6, v3 row_shr:2 row_mask:0xf bank_mask:0xf
	v_mov_b32_dpp v5, v2 row_shr:2 row_mask:0xf bank_mask:0xf
	s_mov_b32 s1, exec_lo
	v_cmpx_lt_u32_e32 1, v4
; %bb.137:
	s_delay_alu instid0(VALU_DEP_3) | instskip(SKIP_1) | instid1(VALU_DEP_2)
	v_add_co_u32 v3, vcc_lo, v0, v6
	v_add_co_ci_u32_e32 v0, vcc_lo, 0, v1, vcc_lo
	v_add_co_u32 v1, vcc_lo, 0, v3
	s_delay_alu instid0(VALU_DEP_2) | instskip(NEXT) | instid1(VALU_DEP_2)
	v_add_co_ci_u32_e32 v2, vcc_lo, v5, v0, vcc_lo
	v_mov_b32_e32 v0, v1
	s_delay_alu instid0(VALU_DEP_2)
	v_mov_b32_e32 v1, v2
; %bb.138:
	s_or_b32 exec_lo, exec_lo, s1
	v_mov_b32_dpp v6, v3 row_shr:4 row_mask:0xf bank_mask:0xf
	v_mov_b32_dpp v5, v2 row_shr:4 row_mask:0xf bank_mask:0xf
	s_mov_b32 s1, exec_lo
	v_cmpx_lt_u32_e32 3, v4
; %bb.139:
	s_delay_alu instid0(VALU_DEP_3) | instskip(SKIP_1) | instid1(VALU_DEP_2)
	v_add_co_u32 v3, vcc_lo, v0, v6
	v_add_co_ci_u32_e32 v0, vcc_lo, 0, v1, vcc_lo
	;; [unrolled: 16-line block ×3, first 2 shown]
	v_add_co_u32 v0, vcc_lo, 0, v3
	s_delay_alu instid0(VALU_DEP_2) | instskip(NEXT) | instid1(VALU_DEP_1)
	v_add_co_ci_u32_e32 v1, vcc_lo, v5, v1, vcc_lo
	v_mov_b32_e32 v2, v1
; %bb.142:
	s_or_b32 exec_lo, exec_lo, s1
	ds_swizzle_b32 v4, v3 offset:swizzle(BROADCAST,32,15)
	ds_swizzle_b32 v2, v2 offset:swizzle(BROADCAST,32,15)
	v_and_b32_e32 v5, 16, v45
	s_mov_b32 s1, exec_lo
	s_delay_alu instid0(VALU_DEP_1)
	v_cmpx_ne_u32_e32 0, v5
	s_cbranch_execz .LBB29_144
; %bb.143:
	s_waitcnt lgkmcnt(1)
	v_add_co_u32 v3, vcc_lo, v0, v4
	v_add_co_ci_u32_e32 v1, vcc_lo, 0, v1, vcc_lo
	s_delay_alu instid0(VALU_DEP_2) | instskip(SKIP_1) | instid1(VALU_DEP_2)
	v_add_co_u32 v0, vcc_lo, 0, v3
	s_waitcnt lgkmcnt(0)
	v_add_co_ci_u32_e32 v1, vcc_lo, v2, v1, vcc_lo
.LBB29_144:
	s_or_b32 exec_lo, exec_lo, s1
	s_waitcnt lgkmcnt(0)
	v_and_b32_e32 v2, 0x3e0, v16
	v_lshrrev_b32_e32 v4, 5, v16
	s_delay_alu instid0(VALU_DEP_2) | instskip(NEXT) | instid1(VALU_DEP_1)
	v_min_u32_e32 v2, 0xe0, v2
	v_or_b32_e32 v2, 31, v2
	s_delay_alu instid0(VALU_DEP_1) | instskip(NEXT) | instid1(VALU_DEP_4)
	v_cmp_eq_u32_e32 vcc_lo, v2, v16
	v_lshlrev_b32_e32 v2, 3, v4
	s_and_saveexec_b32 s1, vcc_lo
	s_cbranch_execz .LBB29_146
; %bb.145:
	ds_store_b64 v2, v[0:1] offset:18432
.LBB29_146:
	s_or_b32 exec_lo, exec_lo, s1
	s_delay_alu instid0(SALU_CYCLE_1)
	s_mov_b32 s1, exec_lo
	s_waitcnt lgkmcnt(0)
	s_barrier
	buffer_gl0_inv
	v_cmpx_gt_u32_e32 8, v16
	s_cbranch_execz .LBB29_154
; %bb.147:
	v_lshlrev_b32_e32 v5, 3, v16
	v_and_b32_e32 v4, 7, v45
	s_mov_b32 s2, exec_lo
	ds_load_b64 v[0:1], v5 offset:18432
	s_waitcnt lgkmcnt(0)
	v_mov_b32_e32 v6, v0
	v_mov_b32_dpp v10, v0 row_shr:1 row_mask:0xf bank_mask:0xf
	v_mov_b32_dpp v7, v1 row_shr:1 row_mask:0xf bank_mask:0xf
	v_cmpx_ne_u32_e32 0, v4
; %bb.148:
	s_delay_alu instid0(VALU_DEP_3) | instskip(SKIP_1) | instid1(VALU_DEP_2)
	v_add_co_u32 v6, vcc_lo, v0, v10
	v_add_co_ci_u32_e32 v1, vcc_lo, 0, v1, vcc_lo
	v_add_co_u32 v0, vcc_lo, 0, v6
	s_delay_alu instid0(VALU_DEP_2)
	v_add_co_ci_u32_e32 v1, vcc_lo, v7, v1, vcc_lo
; %bb.149:
	s_or_b32 exec_lo, exec_lo, s2
	v_mov_b32_dpp v10, v6 row_shr:2 row_mask:0xf bank_mask:0xf
	s_delay_alu instid0(VALU_DEP_2)
	v_mov_b32_dpp v7, v1 row_shr:2 row_mask:0xf bank_mask:0xf
	s_mov_b32 s2, exec_lo
	v_cmpx_lt_u32_e32 1, v4
; %bb.150:
	s_delay_alu instid0(VALU_DEP_3) | instskip(SKIP_1) | instid1(VALU_DEP_2)
	v_add_co_u32 v6, vcc_lo, v0, v10
	v_add_co_ci_u32_e32 v1, vcc_lo, 0, v1, vcc_lo
	v_add_co_u32 v0, vcc_lo, 0, v6
	s_delay_alu instid0(VALU_DEP_2)
	v_add_co_ci_u32_e32 v1, vcc_lo, v7, v1, vcc_lo
; %bb.151:
	s_or_b32 exec_lo, exec_lo, s2
	v_add_nc_u32_e32 v5, 0x4800, v5
	v_mov_b32_dpp v7, v6 row_shr:4 row_mask:0xf bank_mask:0xf
	s_delay_alu instid0(VALU_DEP_3)
	v_mov_b32_dpp v6, v1 row_shr:4 row_mask:0xf bank_mask:0xf
	s_mov_b32 s2, exec_lo
	v_cmpx_lt_u32_e32 3, v4
; %bb.152:
	s_delay_alu instid0(VALU_DEP_3) | instskip(SKIP_1) | instid1(VALU_DEP_2)
	v_add_co_u32 v0, vcc_lo, v0, v7
	v_add_co_ci_u32_e32 v1, vcc_lo, 0, v1, vcc_lo
	v_add_co_u32 v0, vcc_lo, v0, 0
	s_delay_alu instid0(VALU_DEP_2)
	v_add_co_ci_u32_e32 v1, vcc_lo, v1, v6, vcc_lo
; %bb.153:
	s_or_b32 exec_lo, exec_lo, s2
	ds_store_b64 v5, v[0:1]
.LBB29_154:
	s_or_b32 exec_lo, exec_lo, s1
	v_cmp_gt_u32_e32 vcc_lo, 32, v16
	s_mov_b32 s2, exec_lo
	s_waitcnt lgkmcnt(0)
	s_barrier
	buffer_gl0_inv
                                        ; implicit-def: $vgpr10_vgpr11
	v_cmpx_lt_u32_e32 31, v16
	s_cbranch_execz .LBB29_156
; %bb.155:
	ds_load_b64 v[10:11], v2 offset:18424
	s_waitcnt lgkmcnt(0)
	v_add_nc_u32_e32 v3, v3, v10
.LBB29_156:
	s_or_b32 exec_lo, exec_lo, s2
	v_add_nc_u32_e32 v0, -1, v45
	s_delay_alu instid0(VALU_DEP_1) | instskip(NEXT) | instid1(VALU_DEP_1)
	v_cmp_gt_i32_e64 s1, 0, v0
	v_cndmask_b32_e64 v0, v0, v45, s1
	v_cmp_eq_u32_e64 s1, 0, v45
	s_delay_alu instid0(VALU_DEP_2)
	v_lshlrev_b32_e32 v0, 2, v0
	ds_bpermute_b32 v46, v0, v3
	s_and_saveexec_b32 s2, vcc_lo
	s_cbranch_execz .LBB29_194
; %bb.157:
	v_mov_b32_e32 v3, 0
	ds_load_b64 v[0:1], v3 offset:18488
	s_and_saveexec_b32 s3, s1
	s_cbranch_execz .LBB29_159
; %bb.158:
	s_add_i32 s4, s30, 32
	s_mov_b32 s5, 0
	s_delay_alu instid0(SALU_CYCLE_1) | instskip(NEXT) | instid1(SALU_CYCLE_1)
	s_lshl_b64 s[4:5], s[4:5], 4
	s_add_u32 s4, s28, s4
	s_addc_u32 s5, s29, s5
	v_mov_b32_e32 v4, s4
	v_dual_mov_b32 v2, 1 :: v_dual_mov_b32 v5, s5
	s_waitcnt lgkmcnt(0)
	;;#ASMSTART
	global_store_dwordx4 v[4:5], v[0:3] off	
s_waitcnt vmcnt(0)
	;;#ASMEND
.LBB29_159:
	s_or_b32 exec_lo, exec_lo, s3
	v_xad_u32 v11, v45, -1, s30
	s_mov_b32 s4, 0
	s_mov_b32 s3, exec_lo
	s_delay_alu instid0(VALU_DEP_1) | instskip(NEXT) | instid1(VALU_DEP_1)
	v_add_nc_u32_e32 v2, 32, v11
	v_lshlrev_b64 v[2:3], 4, v[2:3]
	s_delay_alu instid0(VALU_DEP_1) | instskip(NEXT) | instid1(VALU_DEP_2)
	v_add_co_u32 v2, vcc_lo, s28, v2
	v_add_co_ci_u32_e32 v3, vcc_lo, s29, v3, vcc_lo
	;;#ASMSTART
	global_load_dwordx4 v[4:7], v[2:3] off glc	
s_waitcnt vmcnt(0)
	;;#ASMEND
	v_and_b32_e32 v7, 0xff, v5
	v_and_b32_e32 v12, 0xff00, v5
	;; [unrolled: 1-line block ×3, first 2 shown]
	v_or3_b32 v4, v4, 0, 0
	v_and_b32_e32 v5, 0xff000000, v5
	s_delay_alu instid0(VALU_DEP_4) | instskip(SKIP_1) | instid1(VALU_DEP_4)
	v_or3_b32 v7, 0, v7, v12
	v_and_b32_e32 v12, 0xff, v6
	v_or3_b32 v4, v4, 0, 0
	s_delay_alu instid0(VALU_DEP_3) | instskip(NEXT) | instid1(VALU_DEP_3)
	v_or3_b32 v5, v7, v13, v5
	v_cmpx_eq_u16_e32 0, v12
	s_cbranch_execz .LBB29_162
.LBB29_160:                             ; =>This Inner Loop Header: Depth=1
	;;#ASMSTART
	global_load_dwordx4 v[4:7], v[2:3] off glc	
s_waitcnt vmcnt(0)
	;;#ASMEND
	v_and_b32_e32 v7, 0xff, v6
	s_delay_alu instid0(VALU_DEP_1) | instskip(SKIP_1) | instid1(SALU_CYCLE_1)
	v_cmp_ne_u16_e32 vcc_lo, 0, v7
	s_or_b32 s4, vcc_lo, s4
	s_and_not1_b32 exec_lo, exec_lo, s4
	s_cbranch_execnz .LBB29_160
; %bb.161:
	s_or_b32 exec_lo, exec_lo, s4
.LBB29_162:
	s_delay_alu instid0(SALU_CYCLE_1)
	s_or_b32 exec_lo, exec_lo, s3
	v_cmp_ne_u32_e32 vcc_lo, 31, v45
	v_and_b32_e32 v3, 0xff, v6
	v_lshlrev_b32_e64 v48, v45, -1
	s_mov_b32 s3, exec_lo
	v_add_co_ci_u32_e32 v2, vcc_lo, 0, v45, vcc_lo
	s_delay_alu instid0(VALU_DEP_3) | instskip(SKIP_1) | instid1(VALU_DEP_3)
	v_cmp_eq_u16_e32 vcc_lo, 2, v3
	v_mov_b32_e32 v3, v4
	v_lshlrev_b32_e32 v47, 2, v2
	v_and_or_b32 v2, vcc_lo, v48, 0x80000000
	ds_bpermute_b32 v12, v47, v4
	ds_bpermute_b32 v7, v47, v5
	v_ctz_i32_b32_e32 v2, v2
	s_delay_alu instid0(VALU_DEP_1)
	v_cmpx_lt_u32_e64 v45, v2
	s_cbranch_execz .LBB29_164
; %bb.163:
	s_waitcnt lgkmcnt(1)
	v_add_co_u32 v3, vcc_lo, v4, v12
	v_add_co_ci_u32_e32 v5, vcc_lo, 0, v5, vcc_lo
	s_delay_alu instid0(VALU_DEP_2) | instskip(SKIP_1) | instid1(VALU_DEP_2)
	v_add_co_u32 v4, vcc_lo, 0, v3
	s_waitcnt lgkmcnt(0)
	v_add_co_ci_u32_e32 v5, vcc_lo, v7, v5, vcc_lo
.LBB29_164:
	s_or_b32 exec_lo, exec_lo, s3
	v_cmp_gt_u32_e32 vcc_lo, 30, v45
	v_add_nc_u32_e32 v50, 2, v45
	s_mov_b32 s3, exec_lo
	s_waitcnt lgkmcnt(0)
	v_cndmask_b32_e64 v7, 0, 1, vcc_lo
	s_delay_alu instid0(VALU_DEP_1) | instskip(NEXT) | instid1(VALU_DEP_1)
	v_lshlrev_b32_e32 v7, 1, v7
	v_add_lshl_u32 v49, v7, v45, 2
	ds_bpermute_b32 v12, v49, v3
	ds_bpermute_b32 v7, v49, v5
	v_cmpx_le_u32_e64 v50, v2
	s_cbranch_execz .LBB29_166
; %bb.165:
	s_waitcnt lgkmcnt(1)
	v_add_co_u32 v3, vcc_lo, v4, v12
	v_add_co_ci_u32_e32 v5, vcc_lo, 0, v5, vcc_lo
	s_delay_alu instid0(VALU_DEP_2) | instskip(SKIP_1) | instid1(VALU_DEP_2)
	v_add_co_u32 v4, vcc_lo, 0, v3
	s_waitcnt lgkmcnt(0)
	v_add_co_ci_u32_e32 v5, vcc_lo, v7, v5, vcc_lo
.LBB29_166:
	s_or_b32 exec_lo, exec_lo, s3
	v_cmp_gt_u32_e32 vcc_lo, 28, v45
	v_add_nc_u32_e32 v52, 4, v45
	s_mov_b32 s3, exec_lo
	s_waitcnt lgkmcnt(0)
	v_cndmask_b32_e64 v7, 0, 1, vcc_lo
	s_delay_alu instid0(VALU_DEP_1) | instskip(NEXT) | instid1(VALU_DEP_1)
	v_lshlrev_b32_e32 v7, 2, v7
	v_add_lshl_u32 v51, v7, v45, 2
	ds_bpermute_b32 v12, v51, v3
	ds_bpermute_b32 v7, v51, v5
	v_cmpx_le_u32_e64 v52, v2
	;; [unrolled: 22-line block ×4, first 2 shown]
	s_cbranch_execz .LBB29_172
; %bb.171:
	s_waitcnt lgkmcnt(1)
	v_add_co_u32 v2, vcc_lo, v4, v7
	v_add_co_ci_u32_e32 v5, vcc_lo, 0, v5, vcc_lo
	s_delay_alu instid0(VALU_DEP_2) | instskip(SKIP_1) | instid1(VALU_DEP_2)
	v_add_co_u32 v4, vcc_lo, v2, 0
	s_waitcnt lgkmcnt(0)
	v_add_co_ci_u32_e32 v5, vcc_lo, v5, v3, vcc_lo
.LBB29_172:
	s_or_b32 exec_lo, exec_lo, s3
	v_mov_b32_e32 v12, 0
	s_branch .LBB29_174
.LBB29_173:                             ;   in Loop: Header=BB29_174 Depth=1
	s_or_b32 exec_lo, exec_lo, s3
	v_add_co_u32 v4, vcc_lo, v4, v2
	v_subrev_nc_u32_e32 v11, 32, v11
	v_add_co_ci_u32_e32 v5, vcc_lo, v5, v3, vcc_lo
.LBB29_174:                             ; =>This Loop Header: Depth=1
                                        ;     Child Loop BB29_177 Depth 2
	v_and_b32_e32 v2, 0xff, v6
	s_delay_alu instid0(VALU_DEP_1) | instskip(SKIP_2) | instid1(VALU_DEP_1)
	v_cmp_ne_u16_e32 vcc_lo, 2, v2
	v_cndmask_b32_e64 v2, 0, 1, vcc_lo
	;;#ASMSTART
	;;#ASMEND
	v_cmp_ne_u32_e32 vcc_lo, 0, v2
	s_waitcnt lgkmcnt(0)
	v_dual_mov_b32 v2, v4 :: v_dual_mov_b32 v3, v5
	s_cmp_lg_u32 vcc_lo, exec_lo
	s_cbranch_scc1 .LBB29_189
; %bb.175:                              ;   in Loop: Header=BB29_174 Depth=1
	v_lshlrev_b64 v[4:5], 4, v[11:12]
	s_mov_b32 s3, exec_lo
	s_delay_alu instid0(VALU_DEP_1) | instskip(NEXT) | instid1(VALU_DEP_2)
	v_add_co_u32 v13, vcc_lo, s28, v4
	v_add_co_ci_u32_e32 v14, vcc_lo, s29, v5, vcc_lo
	;;#ASMSTART
	global_load_dwordx4 v[4:7], v[13:14] off glc	
s_waitcnt vmcnt(0)
	;;#ASMEND
	v_and_b32_e32 v7, 0xff, v5
	v_and_b32_e32 v57, 0xff00, v5
	;; [unrolled: 1-line block ×3, first 2 shown]
	v_or3_b32 v4, v4, 0, 0
	v_and_b32_e32 v5, 0xff000000, v5
	s_delay_alu instid0(VALU_DEP_4) | instskip(SKIP_1) | instid1(VALU_DEP_4)
	v_or3_b32 v7, 0, v7, v57
	v_and_b32_e32 v57, 0xff, v6
	v_or3_b32 v4, v4, 0, 0
	s_delay_alu instid0(VALU_DEP_3) | instskip(NEXT) | instid1(VALU_DEP_3)
	v_or3_b32 v5, v7, v58, v5
	v_cmpx_eq_u16_e32 0, v57
	s_cbranch_execz .LBB29_179
; %bb.176:                              ;   in Loop: Header=BB29_174 Depth=1
	s_mov_b32 s4, 0
.LBB29_177:                             ;   Parent Loop BB29_174 Depth=1
                                        ; =>  This Inner Loop Header: Depth=2
	;;#ASMSTART
	global_load_dwordx4 v[4:7], v[13:14] off glc	
s_waitcnt vmcnt(0)
	;;#ASMEND
	v_and_b32_e32 v7, 0xff, v6
	s_delay_alu instid0(VALU_DEP_1) | instskip(SKIP_1) | instid1(SALU_CYCLE_1)
	v_cmp_ne_u16_e32 vcc_lo, 0, v7
	s_or_b32 s4, vcc_lo, s4
	s_and_not1_b32 exec_lo, exec_lo, s4
	s_cbranch_execnz .LBB29_177
; %bb.178:                              ;   in Loop: Header=BB29_174 Depth=1
	s_or_b32 exec_lo, exec_lo, s4
.LBB29_179:                             ;   in Loop: Header=BB29_174 Depth=1
	s_delay_alu instid0(SALU_CYCLE_1)
	s_or_b32 exec_lo, exec_lo, s3
	v_and_b32_e32 v7, 0xff, v6
	ds_bpermute_b32 v57, v47, v4
	ds_bpermute_b32 v14, v47, v5
	v_mov_b32_e32 v13, v4
	s_mov_b32 s3, exec_lo
	v_cmp_eq_u16_e32 vcc_lo, 2, v7
	v_and_or_b32 v7, vcc_lo, v48, 0x80000000
	s_delay_alu instid0(VALU_DEP_1) | instskip(NEXT) | instid1(VALU_DEP_1)
	v_ctz_i32_b32_e32 v7, v7
	v_cmpx_lt_u32_e64 v45, v7
	s_cbranch_execz .LBB29_181
; %bb.180:                              ;   in Loop: Header=BB29_174 Depth=1
	s_waitcnt lgkmcnt(1)
	v_add_co_u32 v13, vcc_lo, v4, v57
	v_add_co_ci_u32_e32 v5, vcc_lo, 0, v5, vcc_lo
	s_delay_alu instid0(VALU_DEP_2) | instskip(SKIP_1) | instid1(VALU_DEP_2)
	v_add_co_u32 v4, vcc_lo, 0, v13
	s_waitcnt lgkmcnt(0)
	v_add_co_ci_u32_e32 v5, vcc_lo, v14, v5, vcc_lo
.LBB29_181:                             ;   in Loop: Header=BB29_174 Depth=1
	s_or_b32 exec_lo, exec_lo, s3
	s_waitcnt lgkmcnt(1)
	ds_bpermute_b32 v57, v49, v13
	s_waitcnt lgkmcnt(1)
	ds_bpermute_b32 v14, v49, v5
	s_mov_b32 s3, exec_lo
	v_cmpx_le_u32_e64 v50, v7
	s_cbranch_execz .LBB29_183
; %bb.182:                              ;   in Loop: Header=BB29_174 Depth=1
	s_waitcnt lgkmcnt(1)
	v_add_co_u32 v13, vcc_lo, v4, v57
	v_add_co_ci_u32_e32 v5, vcc_lo, 0, v5, vcc_lo
	s_delay_alu instid0(VALU_DEP_2) | instskip(SKIP_1) | instid1(VALU_DEP_2)
	v_add_co_u32 v4, vcc_lo, 0, v13
	s_waitcnt lgkmcnt(0)
	v_add_co_ci_u32_e32 v5, vcc_lo, v14, v5, vcc_lo
.LBB29_183:                             ;   in Loop: Header=BB29_174 Depth=1
	s_or_b32 exec_lo, exec_lo, s3
	s_waitcnt lgkmcnt(1)
	ds_bpermute_b32 v57, v51, v13
	s_waitcnt lgkmcnt(1)
	ds_bpermute_b32 v14, v51, v5
	s_mov_b32 s3, exec_lo
	v_cmpx_le_u32_e64 v52, v7
	;; [unrolled: 17-line block ×3, first 2 shown]
	s_cbranch_execz .LBB29_187
; %bb.186:                              ;   in Loop: Header=BB29_174 Depth=1
	s_waitcnt lgkmcnt(1)
	v_add_co_u32 v13, vcc_lo, v4, v57
	v_add_co_ci_u32_e32 v5, vcc_lo, 0, v5, vcc_lo
	s_delay_alu instid0(VALU_DEP_2) | instskip(SKIP_1) | instid1(VALU_DEP_2)
	v_add_co_u32 v4, vcc_lo, 0, v13
	s_waitcnt lgkmcnt(0)
	v_add_co_ci_u32_e32 v5, vcc_lo, v14, v5, vcc_lo
.LBB29_187:                             ;   in Loop: Header=BB29_174 Depth=1
	s_or_b32 exec_lo, exec_lo, s3
	s_waitcnt lgkmcnt(0)
	ds_bpermute_b32 v14, v55, v13
	ds_bpermute_b32 v13, v55, v5
	s_mov_b32 s3, exec_lo
	v_cmpx_le_u32_e64 v56, v7
	s_cbranch_execz .LBB29_173
; %bb.188:                              ;   in Loop: Header=BB29_174 Depth=1
	s_waitcnt lgkmcnt(1)
	v_add_co_u32 v4, vcc_lo, v4, v14
	v_add_co_ci_u32_e32 v5, vcc_lo, 0, v5, vcc_lo
	s_delay_alu instid0(VALU_DEP_2) | instskip(SKIP_1) | instid1(VALU_DEP_2)
	v_add_co_u32 v4, vcc_lo, v4, 0
	s_waitcnt lgkmcnt(0)
	v_add_co_ci_u32_e32 v5, vcc_lo, v5, v13, vcc_lo
	s_branch .LBB29_173
.LBB29_189:                             ;   in Loop: Header=BB29_174 Depth=1
                                        ; implicit-def: $vgpr4_vgpr5
	s_cbranch_execz .LBB29_174
; %bb.190:
	s_and_saveexec_b32 s3, s1
	s_cbranch_execz .LBB29_192
; %bb.191:
	s_add_i32 s4, s30, 32
	s_mov_b32 s5, 0
	v_add_co_u32 v4, vcc_lo, v2, v0
	s_lshl_b64 s[4:5], s[4:5], 4
	v_dual_mov_b32 v6, 2 :: v_dual_mov_b32 v7, 0
	s_add_u32 s4, s28, s4
	s_addc_u32 s5, s29, s5
	v_add_co_ci_u32_e32 v5, vcc_lo, v3, v1, vcc_lo
	v_dual_mov_b32 v12, s5 :: v_dual_mov_b32 v11, s4
	;;#ASMSTART
	global_store_dwordx4 v[11:12], v[4:7] off	
s_waitcnt vmcnt(0)
	;;#ASMEND
	ds_store_b128 v7, v[0:3] offset:18496
.LBB29_192:
	s_or_b32 exec_lo, exec_lo, s3
	s_delay_alu instid0(SALU_CYCLE_1)
	s_and_b32 exec_lo, exec_lo, s0
	s_cbranch_execz .LBB29_194
; %bb.193:
	v_mov_b32_e32 v0, 0
	ds_store_b64 v0, v[2:3] offset:18488
.LBB29_194:
	s_or_b32 exec_lo, exec_lo, s2
	v_mov_b32_e32 v0, 0
	s_waitcnt lgkmcnt(0)
	s_barrier
	buffer_gl0_inv
	s_movk_i32 s5, 0x4840
	ds_load_b64 v[2:3], v0 offset:18488
	s_waitcnt lgkmcnt(0)
	s_barrier
	buffer_gl0_inv
	ds_load_b64 v[0:1], v0 offset:18504
	v_cndmask_b32_e64 v3, v46, v10, s1
	s_delay_alu instid0(VALU_DEP_1) | instskip(NEXT) | instid1(VALU_DEP_1)
	v_cndmask_b32_e64 v3, v3, 0, s0
	v_add_co_u32 v4, vcc_lo, v2, v3
	s_branch .LBB29_219
.LBB29_195:
                                        ; implicit-def: $vgpr0_vgpr1
                                        ; implicit-def: $sgpr5
                                        ; implicit-def: $vgpr4_vgpr5
	s_and_b32 vcc_lo, exec_lo, s1
	s_cbranch_vccz .LBB29_219
; %bb.196:
	v_mbcnt_lo_u32_b32 v4, -1, 0
	v_mov_b32_e32 v2, 0
	v_mov_b32_dpp v6, v8 row_shr:1 row_mask:0xf bank_mask:0xf
	s_waitcnt lgkmcnt(0)
	v_dual_mov_b32 v0, v8 :: v_dual_mov_b32 v1, v9
	v_and_b32_e32 v3, 15, v4
	v_mov_b32_dpp v5, v2 row_shr:1 row_mask:0xf bank_mask:0xf
	s_mov_b32 s1, exec_lo
	s_delay_alu instid0(VALU_DEP_2)
	v_cmpx_ne_u32_e32 0, v3
; %bb.197:
	v_add_co_u32 v8, s2, v6, v8
	s_delay_alu instid0(VALU_DEP_1) | instskip(NEXT) | instid1(VALU_DEP_2)
	v_add_co_ci_u32_e64 v0, null, 0, 0, s2
	v_add_co_u32 v1, vcc_lo, 0, v8
	s_delay_alu instid0(VALU_DEP_2) | instskip(NEXT) | instid1(VALU_DEP_2)
	v_add_co_ci_u32_e32 v2, vcc_lo, v5, v0, vcc_lo
	v_mov_b32_e32 v0, v1
	s_delay_alu instid0(VALU_DEP_2)
	v_mov_b32_e32 v1, v2
; %bb.198:
	s_or_b32 exec_lo, exec_lo, s1
	v_mov_b32_dpp v6, v8 row_shr:2 row_mask:0xf bank_mask:0xf
	v_mov_b32_dpp v5, v2 row_shr:2 row_mask:0xf bank_mask:0xf
	s_mov_b32 s1, exec_lo
	v_cmpx_lt_u32_e32 1, v3
; %bb.199:
	s_delay_alu instid0(VALU_DEP_3) | instskip(SKIP_1) | instid1(VALU_DEP_2)
	v_add_co_u32 v8, vcc_lo, v0, v6
	v_add_co_ci_u32_e32 v0, vcc_lo, 0, v1, vcc_lo
	v_add_co_u32 v1, vcc_lo, 0, v8
	s_delay_alu instid0(VALU_DEP_2) | instskip(NEXT) | instid1(VALU_DEP_2)
	v_add_co_ci_u32_e32 v2, vcc_lo, v5, v0, vcc_lo
	v_mov_b32_e32 v0, v1
	s_delay_alu instid0(VALU_DEP_2)
	v_mov_b32_e32 v1, v2
; %bb.200:
	s_or_b32 exec_lo, exec_lo, s1
	v_mov_b32_dpp v6, v8 row_shr:4 row_mask:0xf bank_mask:0xf
	v_mov_b32_dpp v5, v2 row_shr:4 row_mask:0xf bank_mask:0xf
	s_mov_b32 s1, exec_lo
	v_cmpx_lt_u32_e32 3, v3
; %bb.201:
	s_delay_alu instid0(VALU_DEP_3) | instskip(SKIP_1) | instid1(VALU_DEP_2)
	v_add_co_u32 v8, vcc_lo, v0, v6
	v_add_co_ci_u32_e32 v0, vcc_lo, 0, v1, vcc_lo
	;; [unrolled: 16-line block ×3, first 2 shown]
	v_add_co_u32 v0, vcc_lo, 0, v8
	s_delay_alu instid0(VALU_DEP_2) | instskip(NEXT) | instid1(VALU_DEP_1)
	v_add_co_ci_u32_e32 v1, vcc_lo, v5, v1, vcc_lo
	v_mov_b32_e32 v2, v1
; %bb.204:
	s_or_b32 exec_lo, exec_lo, s1
	ds_swizzle_b32 v3, v8 offset:swizzle(BROADCAST,32,15)
	ds_swizzle_b32 v2, v2 offset:swizzle(BROADCAST,32,15)
	v_and_b32_e32 v5, 16, v4
	s_mov_b32 s1, exec_lo
	s_delay_alu instid0(VALU_DEP_1)
	v_cmpx_ne_u32_e32 0, v5
	s_cbranch_execz .LBB29_206
; %bb.205:
	s_waitcnt lgkmcnt(1)
	v_add_co_u32 v8, vcc_lo, v0, v3
	v_add_co_ci_u32_e32 v1, vcc_lo, 0, v1, vcc_lo
	s_delay_alu instid0(VALU_DEP_2) | instskip(SKIP_1) | instid1(VALU_DEP_2)
	v_add_co_u32 v0, vcc_lo, 0, v8
	s_waitcnt lgkmcnt(0)
	v_add_co_ci_u32_e32 v1, vcc_lo, v2, v1, vcc_lo
.LBB29_206:
	s_or_b32 exec_lo, exec_lo, s1
	s_waitcnt lgkmcnt(0)
	v_and_b32_e32 v2, 0x3e0, v16
	v_lshrrev_b32_e32 v3, 5, v16
	s_mov_b32 s1, exec_lo
	s_delay_alu instid0(VALU_DEP_2) | instskip(NEXT) | instid1(VALU_DEP_2)
	v_min_u32_e32 v2, 0xe0, v2
	v_lshlrev_b32_e32 v5, 3, v3
	s_delay_alu instid0(VALU_DEP_2) | instskip(NEXT) | instid1(VALU_DEP_1)
	v_or_b32_e32 v2, 31, v2
	v_cmpx_eq_u32_e64 v2, v16
	s_cbranch_execz .LBB29_208
; %bb.207:
	ds_store_b64 v5, v[0:1] offset:18432
.LBB29_208:
	s_or_b32 exec_lo, exec_lo, s1
	s_delay_alu instid0(SALU_CYCLE_1)
	s_mov_b32 s1, exec_lo
	s_waitcnt lgkmcnt(0)
	s_barrier
	buffer_gl0_inv
	v_cmpx_gt_u32_e32 8, v16
	s_cbranch_execz .LBB29_216
; %bb.209:
	v_add_nc_u32_e32 v2, v15, v22
	s_mov_b32 s2, exec_lo
	ds_load_b64 v[0:1], v2
	s_waitcnt lgkmcnt(0)
	v_dual_mov_b32 v6, v0 :: v_dual_and_b32 v3, 7, v4
	v_mov_b32_dpp v9, v0 row_shr:1 row_mask:0xf bank_mask:0xf
	v_mov_b32_dpp v7, v1 row_shr:1 row_mask:0xf bank_mask:0xf
	s_delay_alu instid0(VALU_DEP_3)
	v_cmpx_ne_u32_e32 0, v3
; %bb.210:
	s_delay_alu instid0(VALU_DEP_3) | instskip(SKIP_1) | instid1(VALU_DEP_2)
	v_add_co_u32 v6, vcc_lo, v0, v9
	v_add_co_ci_u32_e32 v1, vcc_lo, 0, v1, vcc_lo
	v_add_co_u32 v0, vcc_lo, 0, v6
	s_delay_alu instid0(VALU_DEP_2)
	v_add_co_ci_u32_e32 v1, vcc_lo, v7, v1, vcc_lo
; %bb.211:
	s_or_b32 exec_lo, exec_lo, s2
	v_mov_b32_dpp v9, v6 row_shr:2 row_mask:0xf bank_mask:0xf
	s_delay_alu instid0(VALU_DEP_2)
	v_mov_b32_dpp v7, v1 row_shr:2 row_mask:0xf bank_mask:0xf
	s_mov_b32 s2, exec_lo
	v_cmpx_lt_u32_e32 1, v3
; %bb.212:
	s_delay_alu instid0(VALU_DEP_3) | instskip(SKIP_1) | instid1(VALU_DEP_2)
	v_add_co_u32 v6, vcc_lo, v0, v9
	v_add_co_ci_u32_e32 v1, vcc_lo, 0, v1, vcc_lo
	v_add_co_u32 v0, vcc_lo, 0, v6
	s_delay_alu instid0(VALU_DEP_2)
	v_add_co_ci_u32_e32 v1, vcc_lo, v7, v1, vcc_lo
; %bb.213:
	s_or_b32 exec_lo, exec_lo, s2
	v_mov_b32_dpp v7, v6 row_shr:4 row_mask:0xf bank_mask:0xf
	s_delay_alu instid0(VALU_DEP_2)
	v_mov_b32_dpp v6, v1 row_shr:4 row_mask:0xf bank_mask:0xf
	s_mov_b32 s2, exec_lo
	v_cmpx_lt_u32_e32 3, v3
; %bb.214:
	s_delay_alu instid0(VALU_DEP_3) | instskip(SKIP_1) | instid1(VALU_DEP_2)
	v_add_co_u32 v0, vcc_lo, v0, v7
	v_add_co_ci_u32_e32 v1, vcc_lo, 0, v1, vcc_lo
	v_add_co_u32 v0, vcc_lo, v0, 0
	s_delay_alu instid0(VALU_DEP_2)
	v_add_co_ci_u32_e32 v1, vcc_lo, v1, v6, vcc_lo
; %bb.215:
	s_or_b32 exec_lo, exec_lo, s2
	ds_store_b64 v2, v[0:1]
.LBB29_216:
	s_or_b32 exec_lo, exec_lo, s1
	v_mov_b32_e32 v0, 0
	v_mov_b32_e32 v1, 0
	s_mov_b32 s1, exec_lo
	s_waitcnt lgkmcnt(0)
	s_barrier
	buffer_gl0_inv
	v_dual_mov_b32 v3, v1 :: v_dual_mov_b32 v2, v0
	v_cmpx_lt_u32_e32 31, v16
	s_cbranch_execz .LBB29_218
; %bb.217:
	ds_load_b64 v[2:3], v5 offset:18424
.LBB29_218:
	s_or_b32 exec_lo, exec_lo, s1
	s_waitcnt lgkmcnt(0)
	v_add_nc_u32_e32 v3, -1, v4
	v_add_nc_u32_e32 v5, v8, v2
	s_movk_i32 s5, 0x4838
	s_delay_alu instid0(VALU_DEP_2) | instskip(SKIP_2) | instid1(VALU_DEP_2)
	v_cmp_gt_i32_e32 vcc_lo, 0, v3
	v_cndmask_b32_e32 v3, v3, v4, vcc_lo
	v_cmp_eq_u32_e32 vcc_lo, 0, v4
	v_lshlrev_b32_e32 v3, 2, v3
	ds_bpermute_b32 v3, v3, v5
	s_waitcnt lgkmcnt(0)
	v_cndmask_b32_e32 v4, v3, v2, vcc_lo
.LBB29_219:
	v_mov_b32_e32 v2, s5
	s_waitcnt lgkmcnt(0)
	s_delay_alu instid0(VALU_DEP_2)
	v_sub_nc_u32_e32 v4, v4, v0
	s_xor_b32 s1, s12, -1
	s_xor_b32 s2, s13, -1
	;; [unrolled: 1-line block ×3, first 2 shown]
	ds_load_b64 v[2:3], v2
	s_xor_b32 s4, s24, -1
	s_xor_b32 s6, s18, -1
	s_waitcnt lgkmcnt(0)
	s_barrier
	buffer_gl0_inv
	s_and_saveexec_b32 s5, s15
	s_cbranch_execnz .LBB29_261
; %bb.220:
	s_or_b32 exec_lo, exec_lo, s5
	s_and_saveexec_b32 s5, s6
	s_cbranch_execnz .LBB29_262
.LBB29_221:
	s_or_b32 exec_lo, exec_lo, s5
	s_and_saveexec_b32 s5, s4
	s_cbranch_execnz .LBB29_263
.LBB29_222:
	s_or_b32 exec_lo, exec_lo, s5
	s_and_saveexec_b32 s4, s3
	s_cbranch_execnz .LBB29_264
.LBB29_223:
	s_or_b32 exec_lo, exec_lo, s4
	s_and_saveexec_b32 s3, s2
	s_cbranch_execnz .LBB29_265
.LBB29_224:
	s_or_b32 exec_lo, exec_lo, s3
	s_and_saveexec_b32 s2, s1
	s_cbranch_execz .LBB29_226
.LBB29_225:
	v_lshlrev_b32_e32 v5, 2, v4
	v_add_nc_u32_e32 v4, 1, v4
	ds_store_b32 v5, v28 offset:19456
.LBB29_226:
	s_or_b32 exec_lo, exec_lo, s2
	v_and_b32_e32 v5, 64, v44
	s_mov_b32 s1, exec_lo
	s_delay_alu instid0(VALU_DEP_1)
	v_cmpx_ne_u32_e32 0, v5
	s_cbranch_execz .LBB29_228
; %bb.227:
	v_lshlrev_b32_e32 v5, 2, v4
	v_add_nc_u32_e32 v4, 1, v4
	ds_store_b32 v5, v29 offset:19456
.LBB29_228:
	s_or_b32 exec_lo, exec_lo, s1
	v_and_b32_e32 v5, 0x80, v43
	s_mov_b32 s1, exec_lo
	s_delay_alu instid0(VALU_DEP_1)
	v_cmpx_ne_u32_e32 0, v5
	s_cbranch_execz .LBB29_230
; %bb.229:
	v_lshlrev_b32_e32 v5, 2, v4
	v_add_nc_u32_e32 v4, 1, v4
	ds_store_b32 v5, v30 offset:19456
.LBB29_230:
	s_or_b32 exec_lo, exec_lo, s1
	v_and_b32_e32 v5, 0x100, v42
	s_mov_b32 s1, exec_lo
	s_delay_alu instid0(VALU_DEP_1)
	v_cmpx_ne_u32_e32 0, v5
	s_cbranch_execz .LBB29_232
; %bb.231:
	v_lshlrev_b32_e32 v5, 2, v4
	v_add_nc_u32_e32 v4, 1, v4
	ds_store_b32 v5, v31 offset:19456
.LBB29_232:
	s_or_b32 exec_lo, exec_lo, s1
	v_and_b32_e32 v5, 0x200, v42
	s_mov_b32 s1, exec_lo
	s_delay_alu instid0(VALU_DEP_1)
	v_cmpx_ne_u32_e32 0, v5
	s_cbranch_execz .LBB29_234
; %bb.233:
	v_lshlrev_b32_e32 v5, 2, v4
	v_add_nc_u32_e32 v4, 1, v4
	ds_store_b32 v5, v32 offset:19456
.LBB29_234:
	s_or_b32 exec_lo, exec_lo, s1
	v_and_b32_e32 v5, 0x400, v41
	s_mov_b32 s1, exec_lo
	s_delay_alu instid0(VALU_DEP_1)
	v_cmpx_ne_u32_e32 0, v5
	s_cbranch_execz .LBB29_236
; %bb.235:
	v_lshlrev_b32_e32 v5, 2, v4
	v_add_nc_u32_e32 v4, 1, v4
	ds_store_b32 v5, v33 offset:19456
.LBB29_236:
	s_or_b32 exec_lo, exec_lo, s1
	v_and_b32_e32 v5, 0x800, v41
	s_mov_b32 s1, exec_lo
	s_delay_alu instid0(VALU_DEP_1)
	v_cmpx_ne_u32_e32 0, v5
	s_cbranch_execz .LBB29_238
; %bb.237:
	v_lshlrev_b32_e32 v5, 2, v4
	v_add_nc_u32_e32 v4, 1, v4
	ds_store_b32 v5, v34 offset:19456
.LBB29_238:
	s_or_b32 exec_lo, exec_lo, s1
	v_and_b32_e32 v5, 0x1000, v40
	s_mov_b32 s1, exec_lo
	s_delay_alu instid0(VALU_DEP_1)
	v_cmpx_ne_u32_e32 0, v5
	s_cbranch_execz .LBB29_240
; %bb.239:
	v_lshlrev_b32_e32 v5, 2, v4
	v_add_nc_u32_e32 v4, 1, v4
	ds_store_b32 v5, v35 offset:19456
.LBB29_240:
	s_or_b32 exec_lo, exec_lo, s1
	v_and_b32_e32 v5, 0x2000, v40
	s_mov_b32 s1, exec_lo
	s_delay_alu instid0(VALU_DEP_1)
	v_cmpx_ne_u32_e32 0, v5
	s_cbranch_execz .LBB29_242
; %bb.241:
	v_lshlrev_b32_e32 v5, 2, v4
	v_add_nc_u32_e32 v4, 1, v4
	ds_store_b32 v5, v36 offset:19456
.LBB29_242:
	s_or_b32 exec_lo, exec_lo, s1
	v_and_b32_e32 v5, 0x4000, v39
	s_mov_b32 s1, exec_lo
	s_delay_alu instid0(VALU_DEP_1)
	v_cmpx_ne_u32_e32 0, v5
	s_cbranch_execz .LBB29_244
; %bb.243:
	v_lshlrev_b32_e32 v5, 2, v4
	v_add_nc_u32_e32 v4, 1, v4
	ds_store_b32 v5, v37 offset:19456
.LBB29_244:
	s_or_b32 exec_lo, exec_lo, s1
	v_and_b32_e32 v5, 0x8000, v39
	s_mov_b32 s1, exec_lo
	s_delay_alu instid0(VALU_DEP_1)
	v_cmpx_ne_u32_e32 0, v5
	s_cbranch_execz .LBB29_246
; %bb.245:
	v_lshlrev_b32_e32 v4, 2, v4
	ds_store_b32 v4, v38 offset:19456
.LBB29_246:
	s_or_b32 exec_lo, exec_lo, s1
	s_waitcnt lgkmcnt(0)
	s_barrier
	buffer_gl0_inv
	s_and_saveexec_b32 s1, s0
	s_cbranch_execz .LBB29_248
; %bb.247:
	v_add_co_u32 v0, vcc_lo, v2, v0
	v_mov_b32_e32 v4, 0
	v_add_co_ci_u32_e32 v1, vcc_lo, v3, v1, vcc_lo
	global_store_b64 v4, v[0:1], s[26:27]
.LBB29_248:
	s_or_b32 exec_lo, exec_lo, s1
	s_branch .LBB29_6
.LBB29_249:
	s_ashr_i32 s0, s23, 31
	v_sub_co_u32 v2, s1, v16, s23
	s_delay_alu instid0(VALU_DEP_1) | instskip(SKIP_3) | instid1(VALU_DEP_4)
	v_sub_co_ci_u32_e64 v3, null, 0, s0, s1
	v_subrev_nc_u32_e32 v0, s23, v16
	v_add_nc_u32_e32 v7, 0x200, v16
	v_or_b32_e32 v12, 0x400, v16
	v_lshlrev_b64 v[2:3], 2, v[2:3]
	v_add_nc_u32_e32 v9, 0x300, v16
	v_ashrrev_i32_e32 v1, 31, v0
	v_add_nc_u32_e32 v13, 0x500, v16
	v_subrev_nc_u32_e32 v8, s23, v12
	v_add_nc_u32_e32 v31, 0xe00, v16
	v_add_co_u32 v10, s0, v18, v2
	s_delay_alu instid0(VALU_DEP_1) | instskip(SKIP_2) | instid1(VALU_DEP_2)
	v_add_co_ci_u32_e64 v11, s0, v19, v3, s0
	v_lshlrev_b32_e32 v15, 2, v16
	v_lshlrev_b64 v[4:5], 2, v[0:1]
	v_add_co_u32 v0, vcc_lo, v20, v15
	v_add_co_ci_u32_e32 v1, vcc_lo, 0, v21, vcc_lo
	s_delay_alu instid0(VALU_DEP_3) | instskip(NEXT) | instid1(VALU_DEP_4)
	v_add_co_u32 v4, vcc_lo, v18, v4
	v_add_co_ci_u32_e32 v5, vcc_lo, v19, v5, vcc_lo
	v_cmp_gt_i32_e32 vcc_lo, s23, v16
	s_delay_alu instid0(VALU_DEP_2) | instskip(NEXT) | instid1(VALU_DEP_4)
	v_dual_cndmask_b32 v3, v5, v1 :: v_dual_add_nc_u32 v6, 0x100, v16
	v_cndmask_b32_e32 v2, v4, v0, vcc_lo
	v_cmp_gt_i32_e32 vcc_lo, s23, v7
	s_delay_alu instid0(VALU_DEP_3) | instskip(SKIP_3) | instid1(VALU_DEP_4)
	v_cmp_gt_i32_e64 s0, s23, v6
	v_dual_cndmask_b32 v7, v11, v1 :: v_dual_cndmask_b32 v6, v10, v0
	v_cmp_gt_i32_e32 vcc_lo, s23, v9
	v_ashrrev_i32_e32 v9, 31, v8
	v_cndmask_b32_e64 v5, v11, v1, s0
	v_cndmask_b32_e64 v4, v10, v0, s0
	global_load_b32 v2, v[2:3], off
	global_load_b32 v3, v[4:5], off offset:1024
	global_load_b32 v4, v[6:7], off offset:2048
	v_dual_cndmask_b32 v6, v11, v1 :: v_dual_lshlrev_b32 v11, 2, v12
	v_lshlrev_b64 v[7:8], 2, v[8:9]
	v_subrev_nc_u32_e32 v9, s23, v13
	v_cndmask_b32_e32 v5, v10, v0, vcc_lo
	s_delay_alu instid0(VALU_DEP_4) | instskip(NEXT) | instid1(VALU_DEP_3)
	v_add_co_u32 v14, vcc_lo, v20, v11
	v_ashrrev_i32_e32 v10, 31, v9
	v_add_co_ci_u32_e32 v11, vcc_lo, 0, v21, vcc_lo
	v_add_co_u32 v22, vcc_lo, v18, v7
	v_add_co_ci_u32_e32 v23, vcc_lo, v19, v8, vcc_lo
	s_delay_alu instid0(VALU_DEP_4) | instskip(SKIP_3) | instid1(VALU_DEP_4)
	v_lshlrev_b64 v[7:8], 2, v[9:10]
	v_add_co_u32 v9, s0, 0x1400, v0
	v_cmp_gt_i32_e32 vcc_lo, s23, v12
	v_add_co_ci_u32_e64 v12, s0, 0, v1, s0
	v_add_co_u32 v7, s0, v18, v7
	s_delay_alu instid0(VALU_DEP_1) | instskip(SKIP_3) | instid1(VALU_DEP_3)
	v_add_co_ci_u32_e64 v25, s0, v19, v8, s0
	v_cmp_gt_i32_e64 s0, s23, v13
	v_dual_cndmask_b32 v11, v23, v11 :: v_dual_cndmask_b32 v10, v22, v14
	v_add_nc_u32_e32 v14, 0x700, v16
	v_cndmask_b32_e64 v13, v25, v12, s0
	v_cndmask_b32_e64 v12, v7, v9, s0
	global_load_b32 v5, v[5:6], off offset:3072
	global_load_b32 v6, v[10:11], off
	global_load_b32 v7, v[12:13], off
	v_add_co_u32 v12, vcc_lo, 0x1800, v0
	v_add_co_ci_u32_e32 v13, vcc_lo, 0, v1, vcc_lo
	v_add_nc_u32_e32 v24, 0x600, v16
	v_subrev_nc_u32_e32 v10, s23, v14
	v_or_b32_e32 v25, 0x800, v16
	s_delay_alu instid0(VALU_DEP_3) | instskip(NEXT) | instid1(VALU_DEP_3)
	v_subrev_nc_u32_e32 v8, s23, v24
	v_ashrrev_i32_e32 v11, 31, v10
	s_delay_alu instid0(VALU_DEP_2) | instskip(NEXT) | instid1(VALU_DEP_1)
	v_ashrrev_i32_e32 v9, 31, v8
	v_lshlrev_b64 v[8:9], 2, v[8:9]
	s_delay_alu instid0(VALU_DEP_1) | instskip(NEXT) | instid1(VALU_DEP_2)
	v_add_co_u32 v22, vcc_lo, v18, v8
	v_add_co_ci_u32_e32 v23, vcc_lo, v19, v9, vcc_lo
	v_lshlrev_b64 v[8:9], 2, v[10:11]
	v_add_co_u32 v11, s0, 0x1c00, v0
	v_cmp_gt_i32_e32 vcc_lo, s23, v24
	v_add_co_ci_u32_e64 v24, s0, 0, v1, s0
	s_delay_alu instid0(VALU_DEP_4) | instskip(NEXT) | instid1(VALU_DEP_1)
	v_add_co_u32 v26, s0, v18, v8
	v_add_co_ci_u32_e64 v27, s0, v19, v9, s0
	v_cndmask_b32_e32 v9, v23, v13, vcc_lo
	v_cmp_gt_i32_e64 s0, s23, v14
	v_subrev_nc_u32_e32 v10, s23, v25
	v_cndmask_b32_e32 v8, v22, v12, vcc_lo
	v_add_nc_u32_e32 v14, 0x900, v16
	v_lshlrev_b32_e32 v22, 2, v25
	v_cndmask_b32_e64 v13, v27, v24, s0
	v_cndmask_b32_e64 v12, v26, v11, s0
	v_ashrrev_i32_e32 v11, 31, v10
	global_load_b32 v8, v[8:9], off
	v_add_co_u32 v22, vcc_lo, v20, v22
	global_load_b32 v9, v[12:13], off
	v_subrev_nc_u32_e32 v12, s23, v14
	v_lshlrev_b64 v[10:11], 2, v[10:11]
	v_add_nc_u32_e32 v27, 0xa00, v16
	v_add_co_ci_u32_e32 v23, vcc_lo, 0, v21, vcc_lo
	s_delay_alu instid0(VALU_DEP_4) | instskip(NEXT) | instid1(VALU_DEP_4)
	v_ashrrev_i32_e32 v13, 31, v12
	v_add_co_u32 v24, vcc_lo, v18, v10
	v_add_co_ci_u32_e32 v26, vcc_lo, v19, v11, vcc_lo
	s_delay_alu instid0(VALU_DEP_3) | instskip(SKIP_3) | instid1(VALU_DEP_1)
	v_lshlrev_b64 v[10:11], 2, v[12:13]
	v_subrev_nc_u32_e32 v12, s23, v27
	v_cmp_gt_i32_e32 vcc_lo, s23, v25
	v_add_co_u32 v25, s0, 0x2400, v0
	v_add_co_ci_u32_e64 v28, s0, 0, v1, s0
	s_delay_alu instid0(VALU_DEP_4) | instskip(SKIP_1) | instid1(VALU_DEP_1)
	v_ashrrev_i32_e32 v13, 31, v12
	v_add_co_u32 v29, s0, v18, v10
	v_add_co_ci_u32_e64 v30, s0, v19, v11, s0
	v_cmp_gt_i32_e64 s0, s23, v14
	v_add_nc_u32_e32 v14, 0xb00, v16
	v_lshlrev_b64 v[12:13], 2, v[12:13]
	v_dual_cndmask_b32 v11, v26, v23 :: v_dual_cndmask_b32 v10, v24, v22
	v_add_co_u32 v26, vcc_lo, 0x2800, v0
	s_delay_alu instid0(VALU_DEP_4)
	v_subrev_nc_u32_e32 v24, s23, v14
	v_cndmask_b32_e64 v23, v30, v28, s0
	v_add_co_ci_u32_e32 v28, vcc_lo, 0, v1, vcc_lo
	v_add_co_u32 v12, vcc_lo, v18, v12
	v_add_co_ci_u32_e32 v13, vcc_lo, v19, v13, vcc_lo
	v_cndmask_b32_e64 v22, v29, v25, s0
	v_ashrrev_i32_e32 v25, 31, v24
	v_cmp_gt_i32_e32 vcc_lo, s23, v27
	v_or_b32_e32 v27, 0xc00, v16
	global_load_b32 v10, v[10:11], off
	global_load_b32 v11, v[22:23], off
	v_lshlrev_b64 v[22:23], 2, v[24:25]
	v_cndmask_b32_e32 v13, v13, v28, vcc_lo
	v_subrev_nc_u32_e32 v24, s23, v27
	v_add_co_u32 v28, s0, 0x2c00, v0
	v_cndmask_b32_e32 v12, v12, v26, vcc_lo
	v_lshlrev_b32_e32 v26, 2, v27
	s_delay_alu instid0(VALU_DEP_4) | instskip(SKIP_4) | instid1(VALU_DEP_1)
	v_ashrrev_i32_e32 v25, 31, v24
	v_cmp_gt_i32_e32 vcc_lo, s23, v14
	v_add_nc_u32_e32 v14, 0xd00, v16
	v_add_co_ci_u32_e64 v29, s0, 0, v1, s0
	v_add_co_u32 v30, s0, v18, v22
	v_add_co_ci_u32_e64 v22, s0, v19, v23, s0
	v_lshlrev_b64 v[23:24], 2, v[24:25]
	v_subrev_nc_u32_e32 v25, s23, v14
	v_add_co_u32 v20, s0, v20, v26
	s_delay_alu instid0(VALU_DEP_4) | instskip(SKIP_1) | instid1(VALU_DEP_4)
	v_cndmask_b32_e32 v22, v22, v29, vcc_lo
	v_add_co_ci_u32_e64 v29, s0, 0, v21, s0
	v_ashrrev_i32_e32 v26, 31, v25
	v_add_co_u32 v23, s0, v18, v23
	s_delay_alu instid0(VALU_DEP_1)
	v_add_co_ci_u32_e64 v24, s0, v19, v24, s0
	v_cndmask_b32_e32 v21, v30, v28, vcc_lo
	v_cmp_gt_i32_e32 vcc_lo, s23, v27
	v_subrev_nc_u32_e32 v27, s23, v31
	v_lshlrev_b64 v[25:26], 2, v[25:26]
	v_cndmask_b32_e32 v24, v24, v29, vcc_lo
	v_add_co_u32 v29, s0, 0x3400, v0
	s_delay_alu instid0(VALU_DEP_4) | instskip(SKIP_2) | instid1(VALU_DEP_1)
	v_ashrrev_i32_e32 v28, 31, v27
	v_add_co_ci_u32_e64 v30, s0, 0, v1, s0
	v_add_co_u32 v32, s0, v18, v25
	v_add_co_ci_u32_e64 v33, s0, v19, v26, s0
	s_delay_alu instid0(VALU_DEP_4) | instskip(SKIP_2) | instid1(VALU_DEP_1)
	v_lshlrev_b64 v[25:26], 2, v[27:28]
	v_cmp_gt_i32_e64 s0, s23, v14
	v_add_co_u32 v14, s1, 0x3800, v0
	v_add_co_ci_u32_e64 v27, s1, 0, v1, s1
	s_delay_alu instid0(VALU_DEP_4) | instskip(NEXT) | instid1(VALU_DEP_1)
	v_add_co_u32 v34, s1, v18, v25
	v_add_co_ci_u32_e64 v28, s1, v19, v26, s1
	v_cmp_gt_i32_e64 s1, s23, v31
	v_cndmask_b32_e32 v23, v23, v20, vcc_lo
	v_cndmask_b32_e64 v26, v33, v30, s0
	v_cndmask_b32_e64 v25, v32, v29, s0
	s_mov_b32 s0, exec_lo
	v_cndmask_b32_e64 v28, v28, v27, s1
	v_cndmask_b32_e64 v27, v34, v14, s1
	global_load_b32 v12, v[12:13], off
	global_load_b32 v13, v[21:22], off
	;; [unrolled: 1-line block ×5, first 2 shown]
	v_add_nc_u32_e32 v22, s23, v17
	v_add_nc_u32_e32 v24, 0xf00, v16
                                        ; implicit-def: $vgpr23
	s_delay_alu instid0(VALU_DEP_1)
	v_cmpx_lt_i32_e64 v24, v22
	s_cbranch_execz .LBB29_251
; %bb.250:
	v_subrev_nc_u32_e32 v25, s23, v24
	v_add_co_u32 v0, vcc_lo, 0x3c00, v0
	v_add_co_ci_u32_e32 v1, vcc_lo, 0, v1, vcc_lo
	s_delay_alu instid0(VALU_DEP_3) | instskip(NEXT) | instid1(VALU_DEP_1)
	v_ashrrev_i32_e32 v26, 31, v25
	v_lshlrev_b64 v[25:26], 2, v[25:26]
	s_delay_alu instid0(VALU_DEP_1) | instskip(NEXT) | instid1(VALU_DEP_2)
	v_add_co_u32 v18, vcc_lo, v18, v25
	v_add_co_ci_u32_e32 v19, vcc_lo, v19, v26, vcc_lo
	v_cmp_gt_i32_e32 vcc_lo, s23, v24
	s_delay_alu instid0(VALU_DEP_2)
	v_dual_cndmask_b32 v1, v19, v1 :: v_dual_cndmask_b32 v0, v18, v0
	global_load_b32 v23, v[0:1], off
.LBB29_251:
	s_or_b32 exec_lo, exec_lo, s0
	v_lshlrev_b32_e32 v0, 4, v16
	s_waitcnt vmcnt(13)
	ds_store_2addr_stride64_b32 v15, v2, v3 offset0:4 offset1:8
	s_waitcnt vmcnt(11)
	ds_store_2addr_stride64_b32 v15, v4, v5 offset0:12 offset1:16
	;; [unrolled: 2-line block ×4, first 2 shown]
	s_lshl_b32 s1, s23, 2
	s_mov_b32 s0, exec_lo
	s_waitcnt vmcnt(5)
	ds_store_2addr_stride64_b32 v15, v10, v11 offset0:36 offset1:40
	s_waitcnt vmcnt(3)
	ds_store_2addr_stride64_b32 v15, v12, v13 offset0:44 offset1:48
	;; [unrolled: 2-line block ×4, first 2 shown]
	v_min_i32_e32 v1, v22, v0
	s_waitcnt lgkmcnt(0)
	s_waitcnt_vscnt null, 0x0
	s_barrier
	buffer_gl0_inv
	v_sub_nc_u32_e32 v0, v1, v17
	v_min_i32_e32 v2, s23, v1
	s_delay_alu instid0(VALU_DEP_2) | instskip(NEXT) | instid1(VALU_DEP_1)
	v_max_i32_e32 v0, 0, v0
	v_cmpx_lt_i32_e64 v0, v2
	s_cbranch_execz .LBB29_255
; %bb.252:
	v_lshlrev_b32_e32 v3, 2, v1
	s_mov_b32 s2, 0
	s_delay_alu instid0(VALU_DEP_1)
	v_add3_u32 v3, s1, v3, 0x400
	.p2align	6
.LBB29_253:                             ; =>This Inner Loop Header: Depth=1
	v_add_nc_u32_e32 v4, v2, v0
	s_delay_alu instid0(VALU_DEP_1) | instskip(NEXT) | instid1(VALU_DEP_1)
	v_ashrrev_i32_e32 v4, 1, v4
	v_not_b32_e32 v5, v4
	v_lshlrev_b32_e32 v6, 2, v4
	v_add_nc_u32_e32 v7, 1, v4
	s_delay_alu instid0(VALU_DEP_3)
	v_lshl_add_u32 v5, v5, 2, v3
	ds_load_b32 v6, v6 offset:1024
	ds_load_b32 v5, v5
	s_waitcnt lgkmcnt(0)
	v_cmp_lt_i32_e32 vcc_lo, v5, v6
	v_cndmask_b32_e32 v2, v2, v4, vcc_lo
	v_cndmask_b32_e32 v0, v7, v0, vcc_lo
	s_delay_alu instid0(VALU_DEP_1) | instskip(SKIP_1) | instid1(SALU_CYCLE_1)
	v_cmp_ge_i32_e32 vcc_lo, v0, v2
	s_or_b32 s2, vcc_lo, s2
	s_and_not1_b32 exec_lo, exec_lo, s2
	s_cbranch_execnz .LBB29_253
; %bb.254:
	s_or_b32 exec_lo, exec_lo, s2
.LBB29_255:
	s_delay_alu instid0(SALU_CYCLE_1) | instskip(SKIP_3) | instid1(VALU_DEP_2)
	s_or_b32 exec_lo, exec_lo, s0
	v_sub_nc_u32_e32 v4, v1, v0
	v_mov_b32_e32 v3, 0
	s_mov_b32 s2, exec_lo
	v_cmpx_lt_i32_e64 v4, v17
	s_cbranch_execz .LBB29_290
; %bb.256:
	v_lshl_add_u32 v5, v4, 2, s1
	v_mov_b32_e32 v2, 0
	v_mov_b32_e32 v6, v0
	s_mov_b32 s0, exec_lo
	ds_load_b32 v3, v5 offset:1024
	v_cmpx_lt_i32_e32 0, v0
	s_cbranch_execnz .LBB29_266
; %bb.257:
	s_or_b32 exec_lo, exec_lo, s0
	s_delay_alu instid0(SALU_CYCLE_1)
	s_mov_b32 s0, exec_lo
	v_cmpx_lt_i32_e64 v2, v6
	s_cbranch_execnz .LBB29_267
.LBB29_258:
	s_or_b32 exec_lo, exec_lo, s0
	s_delay_alu instid0(SALU_CYCLE_1)
	s_mov_b32 s0, exec_lo
	v_cmpx_lt_i32_e64 v2, v6
	s_cbranch_execnz .LBB29_268
.LBB29_259:
	s_or_b32 exec_lo, exec_lo, s0
	s_delay_alu instid0(SALU_CYCLE_1)
	s_mov_b32 s0, exec_lo
	v_cmpx_lt_i32_e64 v2, v6
	s_cbranch_execnz .LBB29_269
.LBB29_260:
	s_or_b32 exec_lo, exec_lo, s0
	s_delay_alu instid0(SALU_CYCLE_1)
	s_mov_b32 s0, exec_lo
	v_cmpx_lt_i32_e64 v2, v6
	s_cbranch_execnz .LBB29_270
	s_branch .LBB29_273
.LBB29_261:
	v_add_nc_u32_e32 v5, 1, v4
	v_lshlrev_b32_e32 v6, 2, v4
	s_delay_alu instid0(VALU_DEP_2)
	v_mov_b32_e32 v4, v5
	ds_store_b32 v6, v24 offset:19456
	s_or_b32 exec_lo, exec_lo, s5
	s_and_saveexec_b32 s5, s6
	s_cbranch_execz .LBB29_221
.LBB29_262:
	v_lshlrev_b32_e32 v5, 2, v4
	v_add_nc_u32_e32 v4, 1, v4
	ds_store_b32 v5, v23 offset:19456
	s_or_b32 exec_lo, exec_lo, s5
	s_and_saveexec_b32 s5, s4
	s_cbranch_execz .LBB29_222
.LBB29_263:
	v_lshlrev_b32_e32 v5, 2, v4
	v_add_nc_u32_e32 v4, 1, v4
	ds_store_b32 v5, v25 offset:19456
	s_or_b32 exec_lo, exec_lo, s5
	s_and_saveexec_b32 s4, s3
	s_cbranch_execz .LBB29_223
.LBB29_264:
	v_lshlrev_b32_e32 v5, 2, v4
	v_add_nc_u32_e32 v4, 1, v4
	ds_store_b32 v5, v26 offset:19456
	s_or_b32 exec_lo, exec_lo, s4
	s_and_saveexec_b32 s3, s2
	s_cbranch_execz .LBB29_224
.LBB29_265:
	v_lshlrev_b32_e32 v5, 2, v4
	v_add_nc_u32_e32 v4, 1, v4
	ds_store_b32 v5, v27 offset:19456
	s_or_b32 exec_lo, exec_lo, s3
	s_and_saveexec_b32 s2, s1
	s_cbranch_execnz .LBB29_225
	s_branch .LBB29_226
.LBB29_266:
	v_mul_lo_u32 v2, 0x1ff, v0
	s_delay_alu instid0(VALU_DEP_1) | instskip(NEXT) | instid1(VALU_DEP_1)
	v_ashrrev_i32_e32 v6, 9, v2
	v_lshlrev_b32_e32 v2, 2, v6
	ds_load_b32 v2, v2 offset:1024
	s_waitcnt lgkmcnt(0)
	v_cmp_lt_i32_e32 vcc_lo, v2, v3
	v_dual_cndmask_b32 v6, v6, v0 :: v_dual_add_nc_u32 v7, 1, v6
	s_delay_alu instid0(VALU_DEP_1) | instskip(SKIP_1) | instid1(SALU_CYCLE_1)
	v_cndmask_b32_e32 v2, 0, v7, vcc_lo
	s_or_b32 exec_lo, exec_lo, s0
	s_mov_b32 s0, exec_lo
	s_delay_alu instid0(VALU_DEP_1)
	v_cmpx_lt_i32_e64 v2, v6
	s_cbranch_execz .LBB29_258
.LBB29_267:
	v_sub_nc_u32_e32 v7, v2, v6
	s_delay_alu instid0(VALU_DEP_1) | instskip(NEXT) | instid1(VALU_DEP_1)
	v_lshl_add_u32 v7, v6, 7, v7
	v_ashrrev_i32_e32 v7, 7, v7
	s_delay_alu instid0(VALU_DEP_1) | instskip(SKIP_4) | instid1(VALU_DEP_1)
	v_lshlrev_b32_e32 v8, 2, v7
	ds_load_b32 v8, v8 offset:1024
	s_waitcnt lgkmcnt(0)
	v_cmp_lt_i32_e32 vcc_lo, v8, v3
	v_dual_cndmask_b32 v6, v7, v6 :: v_dual_add_nc_u32 v9, 1, v7
	v_cndmask_b32_e32 v2, v2, v9, vcc_lo
	s_or_b32 exec_lo, exec_lo, s0
	s_delay_alu instid0(SALU_CYCLE_1) | instskip(NEXT) | instid1(VALU_DEP_1)
	s_mov_b32 s0, exec_lo
	v_cmpx_lt_i32_e64 v2, v6
	s_cbranch_execz .LBB29_259
.LBB29_268:
	v_sub_nc_u32_e32 v7, v2, v6
	s_delay_alu instid0(VALU_DEP_1) | instskip(NEXT) | instid1(VALU_DEP_1)
	v_lshl_add_u32 v7, v6, 5, v7
	v_ashrrev_i32_e32 v7, 5, v7
	s_delay_alu instid0(VALU_DEP_1) | instskip(SKIP_4) | instid1(VALU_DEP_1)
	v_lshlrev_b32_e32 v8, 2, v7
	ds_load_b32 v8, v8 offset:1024
	s_waitcnt lgkmcnt(0)
	v_cmp_lt_i32_e32 vcc_lo, v8, v3
	v_dual_cndmask_b32 v6, v7, v6 :: v_dual_add_nc_u32 v9, 1, v7
	v_cndmask_b32_e32 v2, v2, v9, vcc_lo
	s_or_b32 exec_lo, exec_lo, s0
	s_delay_alu instid0(SALU_CYCLE_1) | instskip(NEXT) | instid1(VALU_DEP_1)
	s_mov_b32 s0, exec_lo
	v_cmpx_lt_i32_e64 v2, v6
	s_cbranch_execz .LBB29_260
.LBB29_269:
	v_sub_nc_u32_e32 v7, v2, v6
	s_delay_alu instid0(VALU_DEP_1) | instskip(NEXT) | instid1(VALU_DEP_1)
	v_lshl_add_u32 v7, v6, 4, v7
	v_ashrrev_i32_e32 v7, 4, v7
	s_delay_alu instid0(VALU_DEP_1) | instskip(SKIP_4) | instid1(VALU_DEP_1)
	v_lshlrev_b32_e32 v8, 2, v7
	ds_load_b32 v8, v8 offset:1024
	s_waitcnt lgkmcnt(0)
	v_cmp_lt_i32_e32 vcc_lo, v8, v3
	v_dual_cndmask_b32 v6, v7, v6 :: v_dual_add_nc_u32 v9, 1, v7
	v_cndmask_b32_e32 v2, v2, v9, vcc_lo
	s_or_b32 exec_lo, exec_lo, s0
	s_delay_alu instid0(SALU_CYCLE_1) | instskip(NEXT) | instid1(VALU_DEP_1)
	s_mov_b32 s0, exec_lo
	v_cmpx_lt_i32_e64 v2, v6
	s_cbranch_execz .LBB29_273
.LBB29_270:
	s_mov_b32 s3, 0
.LBB29_271:                             ; =>This Inner Loop Header: Depth=1
	v_sub_nc_u32_e32 v7, v2, v6
	s_delay_alu instid0(VALU_DEP_1) | instskip(NEXT) | instid1(VALU_DEP_1)
	v_lshl_add_u32 v7, v6, 1, v7
	v_ashrrev_i32_e32 v7, 1, v7
	s_delay_alu instid0(VALU_DEP_1) | instskip(SKIP_4) | instid1(VALU_DEP_1)
	v_lshlrev_b32_e32 v8, 2, v7
	ds_load_b32 v8, v8 offset:1024
	s_waitcnt lgkmcnt(0)
	v_cmp_lt_i32_e32 vcc_lo, v8, v3
	v_dual_cndmask_b32 v6, v7, v6 :: v_dual_add_nc_u32 v9, 1, v7
	v_cndmask_b32_e32 v2, v2, v9, vcc_lo
	s_delay_alu instid0(VALU_DEP_1) | instskip(SKIP_1) | instid1(SALU_CYCLE_1)
	v_cmp_ge_i32_e32 vcc_lo, v2, v6
	s_or_b32 s3, vcc_lo, s3
	s_and_not1_b32 exec_lo, exec_lo, s3
	s_cbranch_execnz .LBB29_271
; %bb.272:
	s_or_b32 exec_lo, exec_lo, s3
.LBB29_273:
	s_delay_alu instid0(SALU_CYCLE_1)
	s_or_b32 exec_lo, exec_lo, s0
	v_dual_mov_b32 v6, 0 :: v_dual_add_nc_u32 v5, 0x400, v5
	v_mov_b32_e32 v7, v4
	s_mov_b32 s0, exec_lo
	v_cmpx_lt_i32_e32 0, v4
	s_cbranch_execnz .LBB29_278
; %bb.274:
	s_or_b32 exec_lo, exec_lo, s0
	s_delay_alu instid0(SALU_CYCLE_1)
	s_mov_b32 s0, exec_lo
	v_cmpx_lt_i32_e64 v6, v7
	s_cbranch_execnz .LBB29_279
.LBB29_275:
	s_or_b32 exec_lo, exec_lo, s0
	s_delay_alu instid0(SALU_CYCLE_1)
	s_mov_b32 s0, exec_lo
	v_cmpx_lt_i32_e64 v6, v7
	s_cbranch_execnz .LBB29_280
.LBB29_276:
	s_or_b32 exec_lo, exec_lo, s0
	s_delay_alu instid0(SALU_CYCLE_1)
	s_mov_b32 s0, exec_lo
	v_cmpx_lt_i32_e64 v6, v7
	s_cbranch_execnz .LBB29_281
.LBB29_277:
	s_or_b32 exec_lo, exec_lo, s0
	s_delay_alu instid0(SALU_CYCLE_1)
	s_mov_b32 s0, exec_lo
	v_cmpx_lt_i32_e64 v6, v7
	s_cbranch_execnz .LBB29_282
	s_branch .LBB29_285
.LBB29_278:
	v_mul_lo_u32 v6, 0x1ff, v4
	s_delay_alu instid0(VALU_DEP_1) | instskip(NEXT) | instid1(VALU_DEP_1)
	v_ashrrev_i32_e32 v7, 9, v6
	v_lshl_add_u32 v6, v7, 2, s1
	ds_load_b32 v6, v6 offset:1024
	s_waitcnt lgkmcnt(0)
	v_cmp_lt_i32_e32 vcc_lo, v6, v3
	v_dual_cndmask_b32 v7, v7, v4 :: v_dual_add_nc_u32 v8, 1, v7
	s_delay_alu instid0(VALU_DEP_1) | instskip(SKIP_1) | instid1(SALU_CYCLE_1)
	v_cndmask_b32_e32 v6, 0, v8, vcc_lo
	s_or_b32 exec_lo, exec_lo, s0
	s_mov_b32 s0, exec_lo
	s_delay_alu instid0(VALU_DEP_1)
	v_cmpx_lt_i32_e64 v6, v7
	s_cbranch_execz .LBB29_275
.LBB29_279:
	v_sub_nc_u32_e32 v8, v6, v7
	s_delay_alu instid0(VALU_DEP_1) | instskip(NEXT) | instid1(VALU_DEP_1)
	v_lshl_add_u32 v8, v7, 7, v8
	v_ashrrev_i32_e32 v8, 7, v8
	s_delay_alu instid0(VALU_DEP_1) | instskip(SKIP_4) | instid1(VALU_DEP_1)
	v_lshl_add_u32 v9, v8, 2, s1
	ds_load_b32 v9, v9 offset:1024
	s_waitcnt lgkmcnt(0)
	v_cmp_lt_i32_e32 vcc_lo, v9, v3
	v_dual_cndmask_b32 v7, v8, v7 :: v_dual_add_nc_u32 v10, 1, v8
	v_cndmask_b32_e32 v6, v6, v10, vcc_lo
	s_or_b32 exec_lo, exec_lo, s0
	s_delay_alu instid0(SALU_CYCLE_1) | instskip(NEXT) | instid1(VALU_DEP_1)
	s_mov_b32 s0, exec_lo
	v_cmpx_lt_i32_e64 v6, v7
	s_cbranch_execz .LBB29_276
.LBB29_280:
	v_sub_nc_u32_e32 v8, v6, v7
	s_delay_alu instid0(VALU_DEP_1) | instskip(NEXT) | instid1(VALU_DEP_1)
	v_lshl_add_u32 v8, v7, 5, v8
	v_ashrrev_i32_e32 v8, 5, v8
	s_delay_alu instid0(VALU_DEP_1) | instskip(SKIP_4) | instid1(VALU_DEP_1)
	v_lshl_add_u32 v9, v8, 2, s1
	ds_load_b32 v9, v9 offset:1024
	s_waitcnt lgkmcnt(0)
	v_cmp_lt_i32_e32 vcc_lo, v9, v3
	v_dual_cndmask_b32 v7, v8, v7 :: v_dual_add_nc_u32 v10, 1, v8
	v_cndmask_b32_e32 v6, v6, v10, vcc_lo
	s_or_b32 exec_lo, exec_lo, s0
	s_delay_alu instid0(SALU_CYCLE_1) | instskip(NEXT) | instid1(VALU_DEP_1)
	s_mov_b32 s0, exec_lo
	v_cmpx_lt_i32_e64 v6, v7
	s_cbranch_execz .LBB29_277
.LBB29_281:
	v_sub_nc_u32_e32 v8, v6, v7
	s_delay_alu instid0(VALU_DEP_1) | instskip(NEXT) | instid1(VALU_DEP_1)
	v_lshl_add_u32 v8, v7, 4, v8
	v_ashrrev_i32_e32 v8, 4, v8
	s_delay_alu instid0(VALU_DEP_1) | instskip(SKIP_4) | instid1(VALU_DEP_1)
	v_lshl_add_u32 v9, v8, 2, s1
	ds_load_b32 v9, v9 offset:1024
	s_waitcnt lgkmcnt(0)
	v_cmp_lt_i32_e32 vcc_lo, v9, v3
	v_dual_cndmask_b32 v7, v8, v7 :: v_dual_add_nc_u32 v10, 1, v8
	v_cndmask_b32_e32 v6, v6, v10, vcc_lo
	s_or_b32 exec_lo, exec_lo, s0
	s_delay_alu instid0(SALU_CYCLE_1) | instskip(NEXT) | instid1(VALU_DEP_1)
	s_mov_b32 s0, exec_lo
	v_cmpx_lt_i32_e64 v6, v7
	s_cbranch_execz .LBB29_285
.LBB29_282:
	s_add_i32 s4, s1, 0x400
	s_mov_b32 s3, 0
.LBB29_283:                             ; =>This Inner Loop Header: Depth=1
	v_sub_nc_u32_e32 v8, v6, v7
	s_delay_alu instid0(VALU_DEP_1) | instskip(NEXT) | instid1(VALU_DEP_1)
	v_lshl_add_u32 v8, v7, 1, v8
	v_ashrrev_i32_e32 v8, 1, v8
	s_delay_alu instid0(VALU_DEP_1) | instskip(SKIP_4) | instid1(VALU_DEP_1)
	v_lshl_add_u32 v9, v8, 2, s4
	ds_load_b32 v9, v9
	s_waitcnt lgkmcnt(0)
	v_cmp_lt_i32_e32 vcc_lo, v9, v3
	v_dual_cndmask_b32 v7, v8, v7 :: v_dual_add_nc_u32 v10, 1, v8
	v_cndmask_b32_e32 v6, v6, v10, vcc_lo
	s_delay_alu instid0(VALU_DEP_1) | instskip(SKIP_1) | instid1(SALU_CYCLE_1)
	v_cmp_ge_i32_e32 vcc_lo, v6, v7
	s_or_b32 s3, vcc_lo, s3
	s_and_not1_b32 exec_lo, exec_lo, s3
	s_cbranch_execnz .LBB29_283
; %bb.284:
	s_or_b32 exec_lo, exec_lo, s3
.LBB29_285:
	s_delay_alu instid0(SALU_CYCLE_1) | instskip(SKIP_4) | instid1(VALU_DEP_1)
	s_or_b32 exec_lo, exec_lo, s0
	v_sub_nc_u32_e32 v0, v0, v2
	v_sub_nc_u32_e32 v8, v4, v6
	s_mov_b32 s3, 0
	s_mov_b32 s0, exec_lo
	v_add_nc_u32_e32 v7, v8, v0
	s_delay_alu instid0(VALU_DEP_1) | instskip(NEXT) | instid1(VALU_DEP_1)
	v_ashrrev_i32_e32 v0, 1, v7
	v_max_i32_e32 v0, v0, v8
	s_delay_alu instid0(VALU_DEP_1) | instskip(NEXT) | instid1(VALU_DEP_1)
	v_add3_u32 v6, v6, v0, 1
	v_min_i32_e32 v6, v6, v17
	s_delay_alu instid0(VALU_DEP_1) | instskip(SKIP_1) | instid1(VALU_DEP_2)
	v_sub_nc_u32_e32 v6, v6, v4
	v_mov_b32_e32 v4, 0
	v_cmpx_lt_i32_e32 0, v6
	s_cbranch_execz .LBB29_289
; %bb.286:
	v_mov_b32_e32 v4, 0
.LBB29_287:                             ; =>This Inner Loop Header: Depth=1
	s_delay_alu instid0(VALU_DEP_1) | instskip(NEXT) | instid1(VALU_DEP_1)
	v_add_nc_u32_e32 v9, v4, v6
	v_ashrrev_i32_e32 v9, 1, v9
	s_delay_alu instid0(VALU_DEP_1)
	v_lshl_add_u32 v10, v9, 2, v5
	v_add_nc_u32_e32 v11, 1, v9
	ds_load_b32 v10, v10
	s_waitcnt lgkmcnt(0)
	v_cmp_gt_i32_e32 vcc_lo, v10, v3
	v_cndmask_b32_e32 v4, v11, v4, vcc_lo
	v_cndmask_b32_e32 v6, v6, v9, vcc_lo
	s_delay_alu instid0(VALU_DEP_1) | instskip(SKIP_1) | instid1(SALU_CYCLE_1)
	v_cmp_ge_i32_e32 vcc_lo, v4, v6
	s_or_b32 s3, vcc_lo, s3
	s_and_not1_b32 exec_lo, exec_lo, s3
	s_cbranch_execnz .LBB29_287
; %bb.288:
	s_or_b32 exec_lo, exec_lo, s3
.LBB29_289:
	s_delay_alu instid0(SALU_CYCLE_1) | instskip(SKIP_2) | instid1(VALU_DEP_1)
	s_or_b32 exec_lo, exec_lo, s0
	s_waitcnt lgkmcnt(0)
	v_add_nc_u32_e32 v3, v4, v8
	v_min_i32_e32 v4, v3, v0
	v_cmp_lt_i32_e32 vcc_lo, v0, v3
	s_delay_alu instid0(VALU_DEP_2) | instskip(SKIP_1) | instid1(VALU_DEP_2)
	v_sub_nc_u32_e32 v5, v7, v4
	v_add_nc_u32_e32 v4, 1, v4
	v_add_nc_u32_e32 v0, v5, v2
	s_delay_alu instid0(VALU_DEP_2) | instskip(NEXT) | instid1(VALU_DEP_1)
	v_cmp_eq_u32_e64 s0, v5, v4
	s_and_b32 s0, vcc_lo, s0
	s_delay_alu instid0(SALU_CYCLE_1)
	v_cndmask_b32_e64 v3, 0, 1, s0
.LBB29_290:
	s_or_b32 exec_lo, exec_lo, s2
	s_delay_alu instid0(VALU_DEP_1)
	v_add_nc_u32_e32 v1, v3, v1
	s_lshl_b32 s0, s23, 16
	v_add_nc_u32_e32 v2, -1, v16
	v_or_b32_e32 v3, s0, v17
	v_cmp_eq_u32_e64 s0, 0, v16
	v_sub_nc_u32_e32 v1, v1, v0
	s_delay_alu instid0(VALU_DEP_2) | instskip(NEXT) | instid1(VALU_DEP_2)
	v_cndmask_b32_e64 v2, v2, 0xff, s0
	v_lshl_or_b32 v4, v0, 16, v1
	v_lshl_add_u32 v5, v1, 2, s1
	s_mov_b32 s1, exec_lo
	s_delay_alu instid0(VALU_DEP_3) | instskip(NEXT) | instid1(VALU_DEP_3)
	v_lshlrev_b32_e32 v2, 2, v2
	v_cndmask_b32_e64 v3, v4, v3, s0
	v_lshlrev_b32_e32 v4, 2, v0
	ds_store_b32 v2, v3
	v_mov_b32_e32 v3, v0
	s_waitcnt lgkmcnt(0)
	s_barrier
	buffer_gl0_inv
	ds_load_b32 v18, v4 offset:1024
	ds_load_b32 v2, v5 offset:1024
	ds_load_b32 v11, v15
	s_waitcnt lgkmcnt(2)
	v_mov_b32_e32 v17, v18
	s_waitcnt lgkmcnt(1)
	v_cmpx_ge_i32_e64 v2, v18
	s_cbranch_execz .LBB29_292
; %bb.291:
	ds_load_b32 v17, v4 offset:1028
	v_add_nc_u32_e32 v3, 1, v0
.LBB29_292:
	s_or_b32 exec_lo, exec_lo, s1
	v_dual_mov_b32 v5, v2 :: v_dual_add_nc_u32 v4, s23, v1
	s_mov_b32 s1, exec_lo
	v_cmpx_ge_i32_e64 v18, v2
	s_cbranch_execz .LBB29_294
; %bb.293:
	s_delay_alu instid0(VALU_DEP_2)
	v_lshlrev_b32_e32 v5, 2, v4
	v_add_nc_u32_e32 v4, 1, v4
	ds_load_b32 v5, v5 offset:1028
.LBB29_294:
	s_or_b32 exec_lo, exec_lo, s1
	s_waitcnt lgkmcnt(0)
	v_dual_mov_b32 v19, v17 :: v_dual_mov_b32 v6, v3
	s_mov_b32 s1, exec_lo
	v_cmpx_ge_i32_e64 v5, v17
	s_cbranch_execz .LBB29_296
; %bb.295:
	v_lshlrev_b32_e32 v6, 2, v3
	ds_load_b32 v19, v6 offset:1028
	v_add_nc_u32_e32 v6, 1, v3
.LBB29_296:
	s_or_b32 exec_lo, exec_lo, s1
	v_dual_mov_b32 v7, v5 :: v_dual_mov_b32 v8, v4
	s_mov_b32 s1, exec_lo
	v_cmpx_ge_i32_e64 v17, v5
	s_cbranch_execz .LBB29_298
; %bb.297:
	v_lshlrev_b32_e32 v7, 2, v4
	v_add_nc_u32_e32 v8, 1, v4
	ds_load_b32 v7, v7 offset:1028
.LBB29_298:
	s_or_b32 exec_lo, exec_lo, s1
	s_waitcnt lgkmcnt(0)
	v_dual_mov_b32 v20, v19 :: v_dual_mov_b32 v9, v6
	s_mov_b32 s1, exec_lo
	v_cmpx_ge_i32_e64 v7, v19
	s_cbranch_execz .LBB29_300
; %bb.299:
	v_lshlrev_b32_e32 v9, 2, v6
	ds_load_b32 v20, v9 offset:1028
	v_add_nc_u32_e32 v9, 1, v6
.LBB29_300:
	s_or_b32 exec_lo, exec_lo, s1
	v_mov_b32_e32 v10, v7
	v_mov_b32_e32 v12, v8
	s_mov_b32 s1, exec_lo
	v_cmpx_ge_i32_e64 v19, v7
	s_cbranch_execz .LBB29_302
; %bb.301:
	v_lshlrev_b32_e32 v10, 2, v8
	v_add_nc_u32_e32 v12, 1, v8
	ds_load_b32 v10, v10 offset:1028
.LBB29_302:
	s_or_b32 exec_lo, exec_lo, s1
	s_waitcnt lgkmcnt(0)
	v_mov_b32_e32 v21, v20
	v_mov_b32_e32 v13, v9
	s_mov_b32 s1, exec_lo
	v_cmpx_ge_i32_e64 v10, v20
	s_cbranch_execz .LBB29_304
; %bb.303:
	v_lshlrev_b32_e32 v13, 2, v9
	ds_load_b32 v21, v13 offset:1028
	v_add_nc_u32_e32 v13, 1, v9
.LBB29_304:
	s_or_b32 exec_lo, exec_lo, s1
	v_dual_mov_b32 v14, v10 :: v_dual_mov_b32 v33, v12
	s_mov_b32 s1, exec_lo
	v_cmpx_ge_i32_e64 v20, v10
	s_cbranch_execz .LBB29_306
; %bb.305:
	v_lshlrev_b32_e32 v14, 2, v12
	v_add_nc_u32_e32 v33, 1, v12
	ds_load_b32 v14, v14 offset:1028
.LBB29_306:
	s_or_b32 exec_lo, exec_lo, s1
	s_waitcnt lgkmcnt(0)
	v_mov_b32_e32 v22, v21
	v_mov_b32_e32 v34, v13
	s_mov_b32 s1, exec_lo
	v_cmpx_ge_i32_e64 v14, v21
	s_cbranch_execz .LBB29_308
; %bb.307:
	v_lshlrev_b32_e32 v22, 2, v13
	v_add_nc_u32_e32 v34, 1, v13
	ds_load_b32 v22, v22 offset:1028
.LBB29_308:
	s_or_b32 exec_lo, exec_lo, s1
	v_dual_mov_b32 v35, v14 :: v_dual_mov_b32 v36, v33
	s_mov_b32 s1, exec_lo
	v_cmpx_ge_i32_e64 v21, v14
	s_cbranch_execz .LBB29_310
; %bb.309:
	v_lshlrev_b32_e32 v23, 2, v33
	v_add_nc_u32_e32 v36, 1, v33
	ds_load_b32 v35, v23 offset:1028
.LBB29_310:
	s_or_b32 exec_lo, exec_lo, s1
	s_waitcnt lgkmcnt(0)
	v_mov_b32_e32 v23, v22
	v_mov_b32_e32 v37, v34
	s_mov_b32 s1, exec_lo
	v_cmpx_ge_i32_e64 v35, v22
	s_cbranch_execz .LBB29_312
; %bb.311:
	v_lshlrev_b32_e32 v23, 2, v34
	v_add_nc_u32_e32 v37, 1, v34
	ds_load_b32 v23, v23 offset:1028
.LBB29_312:
	;; [unrolled: 22-line block ×11, first 2 shown]
	s_or_b32 exec_lo, exec_lo, s1
	v_dual_mov_b32 v66, v63 :: v_dual_mov_b32 v65, v62
	s_mov_b32 s1, exec_lo
	v_cmpx_ge_i32_e64 v31, v63
	s_cbranch_execz .LBB29_350
; %bb.349:
	v_lshlrev_b32_e32 v65, 2, v62
	ds_load_b32 v66, v65 offset:1028
	v_add_nc_u32_e32 v65, 1, v62
.LBB29_350:
	s_or_b32 exec_lo, exec_lo, s1
	v_and_b32_e32 v67, 0xffff, v11
	v_ashrrev_i32_e32 v11, 16, v11
	v_cmp_ne_u32_e64 s1, v63, v31
	v_cmp_ne_u32_e64 s17, v38, v23
	;; [unrolled: 1-line block ×3, first 2 shown]
	v_add_nc_u32_e32 v63, s23, v67
	v_cmp_ge_i32_e64 s14, v34, v11
	v_cmp_ge_i32_e64 s18, v9, v11
	;; [unrolled: 1-line block ×3, first 2 shown]
	v_cmp_gt_i32_e64 s22, v67, v1
	v_cmp_ge_i32_e64 s15, v36, v63
	v_cmp_ge_i32_e64 s19, v12, v63
	;; [unrolled: 1-line block ×5, first 2 shown]
	s_or_b32 s36, s14, s15
	v_cmp_ge_i32_e64 s14, v13, v11
	v_cmp_ge_i32_e64 s15, v33, v63
	s_or_b32 s38, s18, s19
	s_or_b32 s23, s20, s21
	v_cmp_ge_i32_e64 s19, v3, v11
	v_cmp_ge_i32_e64 s20, v4, v63
	s_or_b32 s37, s14, s15
	v_cmp_ne_u32_e64 s15, v7, v19
	v_cmp_gt_i32_e64 s21, v11, v0
	v_cmp_ne_u32_e64 s18, v5, v17
	s_or_b32 s19, s19, s20
	v_cmp_ge_i32_e64 s4, v61, v11
	s_or_b32 s23, s15, s23
	v_cmp_eq_u32_e64 s15, v2, v18
	s_and_b32 s20, s21, s22
	v_cmp_ge_i32_e64 s5, v58, v11
	v_cmp_ge_i32_e64 s7, v62, v63
	;; [unrolled: 1-line block ×5, first 2 shown]
	s_or_b32 s35, s12, s13
	v_cmp_ne_u32_e64 s13, v14, v21
	v_cmp_ne_u32_e64 s14, v10, v20
	s_or_b32 s18, s18, s19
	s_and_b32 s15, s20, s15
	v_cndmask_b32_e64 v0, 4, 0, s23
	v_cndmask_b32_e64 v1, 2, 0, s18
	;; [unrolled: 1-line block ×3, first 2 shown]
	v_cmp_ge_i32_e64 s3, v64, v11
	v_cmp_ge_i32_e64 s6, v65, v63
	s_or_b32 s25, s4, s7
	s_or_b32 s26, s5, s8
	s_or_b32 s27, s9, s10
	v_cmp_ge_i32_e64 s7, v49, v11
	v_cmp_ge_i32_e64 s8, v51, v63
	;; [unrolled: 1-line block ×4, first 2 shown]
	v_cmp_ne_u32_e64 s12, v35, v22
	s_or_b32 s13, s13, s37
	s_or_b32 s14, s14, s38
	v_cndmask_b32_e64 v3, 16, 0, s13
	v_cndmask_b32_e64 v4, 8, 0, s14
	v_or3_b32 v0, v1, v2, v0
	s_or_b32 s24, s3, s6
	v_cmp_ge_i32_e64 s5, v52, v11
	v_cmp_ge_i32_e64 s6, v54, v63
	;; [unrolled: 1-line block ×4, first 2 shown]
	s_or_b32 s33, s7, s8
	s_or_b32 s34, s9, s10
	v_cmp_ge_i32_e64 s8, v43, v11
	v_cmp_ge_i32_e64 s9, v45, v63
	v_cmp_ne_u32_e64 s10, v42, v24
	s_or_b32 s17, s17, s35
	s_or_b32 s12, s12, s36
	v_cndmask_b32_e64 v1, 64, 0, s17
	v_cndmask_b32_e64 v2, 32, 0, s12
	v_or3_b32 v0, v0, v4, v3
	s_or_b32 s31, s5, s6
	v_cmp_ne_u32_e64 s6, v47, v26
	s_or_b32 s11, s11, s16
	v_cmp_ne_u32_e64 s7, v44, v25
	s_or_b32 s8, s8, s9
	s_or_b32 s9, s10, s11
	v_or3_b32 v38, v0, v2, v1
	v_cndmask_b32_e64 v3, 0x80, 0, s9
	v_cmp_ne_u32_e64 s4, v53, v28
	s_or_b32 s6, s6, s34
	v_cmp_ne_u32_e64 s5, v50, v27
	v_cndmask_b32_e64 v0, 0x200, 0, s6
	s_or_b32 s6, s7, s8
	v_or_b32_e32 v37, v3, v38
	v_cndmask_b32_e64 v1, 0x100, 0, s6
	s_or_b32 s4, s4, s31
	v_cmp_ne_u32_e64 s3, v56, v29
	v_cndmask_b32_e64 v2, 0x800, 0, s4
	s_or_b32 s4, s5, s33
	v_or3_b32 v36, v1, v0, v37
	v_cndmask_b32_e64 v3, 0x400, 0, s4
	s_or_b32 s2, s2, s26
	s_waitcnt lgkmcnt(0)
	v_cmp_ne_u32_e32 vcc_lo, v66, v32
	v_cndmask_b32_e64 v0, 0x2000, 0, s2
	s_or_b32 s2, s3, s27
	v_or3_b32 v35, v3, v2, v36
	v_cndmask_b32_e64 v1, 0x1000, 0, s2
	s_or_b32 s2, vcc_lo, s24
	s_or_b32 s1, s1, s25
	v_cndmask_b32_e64 v2, 0x8000, 0, s2
	v_cndmask_b32_e64 v3, 0x4000, 0, s1
	v_or3_b32 v34, v1, v0, v35
	v_mov_b32_e32 v9, 0
	v_mbcnt_lo_u32_b32 v39, -1, 0
	s_mov_b32 s1, -1
	s_cmp_lg_u32 s30, 0
	v_or3_b32 v33, v3, v2, v34
	s_barrier
	buffer_gl0_inv
	v_bcnt_u32_b32 v8, v33, 0
	s_cbranch_scc0 .LBB29_412
; %bb.351:
	s_delay_alu instid0(VALU_DEP_1)
	v_dual_mov_b32 v3, v8 :: v_dual_and_b32 v4, 15, v39
	v_mov_b32_dpp v6, v8 row_shr:1 row_mask:0xf bank_mask:0xf
	v_mov_b32_dpp v5, v9 row_shr:1 row_mask:0xf bank_mask:0xf
	v_mov_b32_e32 v2, v9
	v_dual_mov_b32 v0, v8 :: v_dual_mov_b32 v1, v9
	s_mov_b32 s1, exec_lo
	v_cmpx_ne_u32_e32 0, v4
; %bb.352:
	v_add_co_u32 v3, s2, v6, v8
	s_delay_alu instid0(VALU_DEP_1) | instskip(NEXT) | instid1(VALU_DEP_2)
	v_add_co_ci_u32_e64 v0, null, 0, 0, s2
	v_add_co_u32 v1, vcc_lo, 0, v3
	s_delay_alu instid0(VALU_DEP_2) | instskip(NEXT) | instid1(VALU_DEP_2)
	v_add_co_ci_u32_e32 v2, vcc_lo, v5, v0, vcc_lo
	v_mov_b32_e32 v0, v1
	s_delay_alu instid0(VALU_DEP_2)
	v_mov_b32_e32 v1, v2
; %bb.353:
	s_or_b32 exec_lo, exec_lo, s1
	v_mov_b32_dpp v6, v3 row_shr:2 row_mask:0xf bank_mask:0xf
	v_mov_b32_dpp v5, v2 row_shr:2 row_mask:0xf bank_mask:0xf
	s_mov_b32 s1, exec_lo
	v_cmpx_lt_u32_e32 1, v4
; %bb.354:
	s_delay_alu instid0(VALU_DEP_3) | instskip(SKIP_1) | instid1(VALU_DEP_2)
	v_add_co_u32 v3, vcc_lo, v0, v6
	v_add_co_ci_u32_e32 v0, vcc_lo, 0, v1, vcc_lo
	v_add_co_u32 v1, vcc_lo, 0, v3
	s_delay_alu instid0(VALU_DEP_2) | instskip(NEXT) | instid1(VALU_DEP_2)
	v_add_co_ci_u32_e32 v2, vcc_lo, v5, v0, vcc_lo
	v_mov_b32_e32 v0, v1
	s_delay_alu instid0(VALU_DEP_2)
	v_mov_b32_e32 v1, v2
; %bb.355:
	s_or_b32 exec_lo, exec_lo, s1
	v_mov_b32_dpp v6, v3 row_shr:4 row_mask:0xf bank_mask:0xf
	v_mov_b32_dpp v5, v2 row_shr:4 row_mask:0xf bank_mask:0xf
	s_mov_b32 s1, exec_lo
	v_cmpx_lt_u32_e32 3, v4
; %bb.356:
	s_delay_alu instid0(VALU_DEP_3) | instskip(SKIP_1) | instid1(VALU_DEP_2)
	v_add_co_u32 v3, vcc_lo, v0, v6
	v_add_co_ci_u32_e32 v0, vcc_lo, 0, v1, vcc_lo
	;; [unrolled: 16-line block ×3, first 2 shown]
	v_add_co_u32 v0, vcc_lo, 0, v3
	s_delay_alu instid0(VALU_DEP_2) | instskip(NEXT) | instid1(VALU_DEP_1)
	v_add_co_ci_u32_e32 v1, vcc_lo, v5, v1, vcc_lo
	v_mov_b32_e32 v2, v1
; %bb.359:
	s_or_b32 exec_lo, exec_lo, s1
	ds_swizzle_b32 v4, v3 offset:swizzle(BROADCAST,32,15)
	ds_swizzle_b32 v2, v2 offset:swizzle(BROADCAST,32,15)
	v_and_b32_e32 v5, 16, v39
	s_mov_b32 s1, exec_lo
	s_delay_alu instid0(VALU_DEP_1)
	v_cmpx_ne_u32_e32 0, v5
	s_cbranch_execz .LBB29_361
; %bb.360:
	s_waitcnt lgkmcnt(1)
	v_add_co_u32 v3, vcc_lo, v0, v4
	v_add_co_ci_u32_e32 v1, vcc_lo, 0, v1, vcc_lo
	s_delay_alu instid0(VALU_DEP_2) | instskip(SKIP_1) | instid1(VALU_DEP_2)
	v_add_co_u32 v0, vcc_lo, 0, v3
	s_waitcnt lgkmcnt(0)
	v_add_co_ci_u32_e32 v1, vcc_lo, v2, v1, vcc_lo
.LBB29_361:
	s_or_b32 exec_lo, exec_lo, s1
	s_waitcnt lgkmcnt(0)
	v_and_b32_e32 v2, 0x3e0, v16
	s_mov_b32 s1, exec_lo
	s_delay_alu instid0(VALU_DEP_1) | instskip(NEXT) | instid1(VALU_DEP_1)
	v_min_u32_e32 v2, 0xe0, v2
	v_or_b32_e32 v4, 31, v2
	v_lshrrev_b32_e32 v2, 5, v16
	s_delay_alu instid0(VALU_DEP_2)
	v_cmpx_eq_u32_e64 v4, v16
	s_cbranch_execz .LBB29_363
; %bb.362:
	s_delay_alu instid0(VALU_DEP_2)
	v_lshlrev_b32_e32 v4, 3, v2
	ds_store_b64 v4, v[0:1]
.LBB29_363:
	s_or_b32 exec_lo, exec_lo, s1
	s_delay_alu instid0(SALU_CYCLE_1)
	s_mov_b32 s1, exec_lo
	s_waitcnt lgkmcnt(0)
	s_barrier
	buffer_gl0_inv
	v_cmpx_gt_u32_e32 8, v16
	s_cbranch_execz .LBB29_371
; %bb.364:
	v_lshlrev_b32_e32 v4, 3, v16
	s_mov_b32 s2, exec_lo
	ds_load_b64 v[0:1], v4
	s_waitcnt lgkmcnt(0)
	v_dual_mov_b32 v6, v0 :: v_dual_and_b32 v5, 7, v39
	v_mov_b32_dpp v10, v0 row_shr:1 row_mask:0xf bank_mask:0xf
	v_mov_b32_dpp v7, v1 row_shr:1 row_mask:0xf bank_mask:0xf
	s_delay_alu instid0(VALU_DEP_3)
	v_cmpx_ne_u32_e32 0, v5
; %bb.365:
	s_delay_alu instid0(VALU_DEP_3) | instskip(SKIP_1) | instid1(VALU_DEP_2)
	v_add_co_u32 v6, vcc_lo, v0, v10
	v_add_co_ci_u32_e32 v1, vcc_lo, 0, v1, vcc_lo
	v_add_co_u32 v0, vcc_lo, 0, v6
	s_delay_alu instid0(VALU_DEP_2)
	v_add_co_ci_u32_e32 v1, vcc_lo, v7, v1, vcc_lo
; %bb.366:
	s_or_b32 exec_lo, exec_lo, s2
	v_mov_b32_dpp v10, v6 row_shr:2 row_mask:0xf bank_mask:0xf
	s_delay_alu instid0(VALU_DEP_2)
	v_mov_b32_dpp v7, v1 row_shr:2 row_mask:0xf bank_mask:0xf
	s_mov_b32 s2, exec_lo
	v_cmpx_lt_u32_e32 1, v5
; %bb.367:
	s_delay_alu instid0(VALU_DEP_3) | instskip(SKIP_1) | instid1(VALU_DEP_2)
	v_add_co_u32 v6, vcc_lo, v0, v10
	v_add_co_ci_u32_e32 v1, vcc_lo, 0, v1, vcc_lo
	v_add_co_u32 v0, vcc_lo, 0, v6
	s_delay_alu instid0(VALU_DEP_2)
	v_add_co_ci_u32_e32 v1, vcc_lo, v7, v1, vcc_lo
; %bb.368:
	s_or_b32 exec_lo, exec_lo, s2
	v_mov_b32_dpp v7, v6 row_shr:4 row_mask:0xf bank_mask:0xf
	s_delay_alu instid0(VALU_DEP_2)
	v_mov_b32_dpp v6, v1 row_shr:4 row_mask:0xf bank_mask:0xf
	s_mov_b32 s2, exec_lo
	v_cmpx_lt_u32_e32 3, v5
; %bb.369:
	s_delay_alu instid0(VALU_DEP_3) | instskip(SKIP_1) | instid1(VALU_DEP_2)
	v_add_co_u32 v0, vcc_lo, v0, v7
	v_add_co_ci_u32_e32 v1, vcc_lo, 0, v1, vcc_lo
	v_add_co_u32 v0, vcc_lo, v0, 0
	s_delay_alu instid0(VALU_DEP_2)
	v_add_co_ci_u32_e32 v1, vcc_lo, v1, v6, vcc_lo
; %bb.370:
	s_or_b32 exec_lo, exec_lo, s2
	ds_store_b64 v4, v[0:1]
.LBB29_371:
	s_or_b32 exec_lo, exec_lo, s1
	v_cmp_gt_u32_e32 vcc_lo, 32, v16
	s_mov_b32 s2, exec_lo
	s_waitcnt lgkmcnt(0)
	s_barrier
	buffer_gl0_inv
                                        ; implicit-def: $vgpr10_vgpr11
	v_cmpx_lt_u32_e32 31, v16
	s_cbranch_execz .LBB29_373
; %bb.372:
	v_lshl_add_u32 v0, v2, 3, -8
	ds_load_b64 v[10:11], v0
	s_waitcnt lgkmcnt(0)
	v_add_nc_u32_e32 v3, v3, v10
.LBB29_373:
	s_or_b32 exec_lo, exec_lo, s2
	v_add_nc_u32_e32 v0, -1, v39
	s_delay_alu instid0(VALU_DEP_1) | instskip(NEXT) | instid1(VALU_DEP_1)
	v_cmp_gt_i32_e64 s1, 0, v0
	v_cndmask_b32_e64 v0, v0, v39, s1
	v_cmp_eq_u32_e64 s1, 0, v39
	s_delay_alu instid0(VALU_DEP_2)
	v_lshlrev_b32_e32 v0, 2, v0
	ds_bpermute_b32 v40, v0, v3
	s_and_saveexec_b32 s2, vcc_lo
	s_cbranch_execz .LBB29_411
; %bb.374:
	v_mov_b32_e32 v3, 0
	ds_load_b64 v[0:1], v3 offset:56
	s_and_saveexec_b32 s3, s1
	s_cbranch_execz .LBB29_376
; %bb.375:
	s_add_i32 s4, s30, 32
	s_mov_b32 s5, 0
	s_delay_alu instid0(SALU_CYCLE_1) | instskip(NEXT) | instid1(SALU_CYCLE_1)
	s_lshl_b64 s[4:5], s[4:5], 4
	s_add_u32 s4, s28, s4
	s_addc_u32 s5, s29, s5
	v_mov_b32_e32 v4, s4
	v_dual_mov_b32 v2, 1 :: v_dual_mov_b32 v5, s5
	s_waitcnt lgkmcnt(0)
	;;#ASMSTART
	global_store_dwordx4 v[4:5], v[0:3] off	
s_waitcnt vmcnt(0)
	;;#ASMEND
.LBB29_376:
	s_or_b32 exec_lo, exec_lo, s3
	v_xad_u32 v11, v39, -1, s30
	s_mov_b32 s4, 0
	s_mov_b32 s3, exec_lo
	s_delay_alu instid0(VALU_DEP_1) | instskip(NEXT) | instid1(VALU_DEP_1)
	v_add_nc_u32_e32 v2, 32, v11
	v_lshlrev_b64 v[2:3], 4, v[2:3]
	s_delay_alu instid0(VALU_DEP_1) | instskip(NEXT) | instid1(VALU_DEP_2)
	v_add_co_u32 v2, vcc_lo, s28, v2
	v_add_co_ci_u32_e32 v3, vcc_lo, s29, v3, vcc_lo
	;;#ASMSTART
	global_load_dwordx4 v[4:7], v[2:3] off glc	
s_waitcnt vmcnt(0)
	;;#ASMEND
	v_and_b32_e32 v7, 0xff, v5
	v_and_b32_e32 v12, 0xff00, v5
	;; [unrolled: 1-line block ×3, first 2 shown]
	v_or3_b32 v4, v4, 0, 0
	v_and_b32_e32 v5, 0xff000000, v5
	s_delay_alu instid0(VALU_DEP_4) | instskip(SKIP_1) | instid1(VALU_DEP_4)
	v_or3_b32 v7, 0, v7, v12
	v_and_b32_e32 v12, 0xff, v6
	v_or3_b32 v4, v4, 0, 0
	s_delay_alu instid0(VALU_DEP_3) | instskip(NEXT) | instid1(VALU_DEP_3)
	v_or3_b32 v5, v7, v13, v5
	v_cmpx_eq_u16_e32 0, v12
	s_cbranch_execz .LBB29_379
.LBB29_377:                             ; =>This Inner Loop Header: Depth=1
	;;#ASMSTART
	global_load_dwordx4 v[4:7], v[2:3] off glc	
s_waitcnt vmcnt(0)
	;;#ASMEND
	v_and_b32_e32 v7, 0xff, v6
	s_delay_alu instid0(VALU_DEP_1) | instskip(SKIP_1) | instid1(SALU_CYCLE_1)
	v_cmp_ne_u16_e32 vcc_lo, 0, v7
	s_or_b32 s4, vcc_lo, s4
	s_and_not1_b32 exec_lo, exec_lo, s4
	s_cbranch_execnz .LBB29_377
; %bb.378:
	s_or_b32 exec_lo, exec_lo, s4
.LBB29_379:
	s_delay_alu instid0(SALU_CYCLE_1)
	s_or_b32 exec_lo, exec_lo, s3
	v_cmp_ne_u32_e32 vcc_lo, 31, v39
	v_and_b32_e32 v3, 0xff, v6
	v_lshlrev_b32_e64 v42, v39, -1
	s_mov_b32 s3, exec_lo
	v_add_co_ci_u32_e32 v2, vcc_lo, 0, v39, vcc_lo
	s_delay_alu instid0(VALU_DEP_3) | instskip(SKIP_1) | instid1(VALU_DEP_3)
	v_cmp_eq_u16_e32 vcc_lo, 2, v3
	v_mov_b32_e32 v3, v4
	v_lshlrev_b32_e32 v41, 2, v2
	v_and_or_b32 v2, vcc_lo, v42, 0x80000000
	ds_bpermute_b32 v12, v41, v4
	ds_bpermute_b32 v7, v41, v5
	v_ctz_i32_b32_e32 v2, v2
	s_delay_alu instid0(VALU_DEP_1)
	v_cmpx_lt_u32_e64 v39, v2
	s_cbranch_execz .LBB29_381
; %bb.380:
	s_waitcnt lgkmcnt(1)
	v_add_co_u32 v3, vcc_lo, v4, v12
	v_add_co_ci_u32_e32 v5, vcc_lo, 0, v5, vcc_lo
	s_delay_alu instid0(VALU_DEP_2) | instskip(SKIP_1) | instid1(VALU_DEP_2)
	v_add_co_u32 v4, vcc_lo, 0, v3
	s_waitcnt lgkmcnt(0)
	v_add_co_ci_u32_e32 v5, vcc_lo, v7, v5, vcc_lo
.LBB29_381:
	s_or_b32 exec_lo, exec_lo, s3
	v_cmp_gt_u32_e32 vcc_lo, 30, v39
	v_add_nc_u32_e32 v44, 2, v39
	s_mov_b32 s3, exec_lo
	s_waitcnt lgkmcnt(0)
	v_cndmask_b32_e64 v7, 0, 1, vcc_lo
	s_delay_alu instid0(VALU_DEP_1) | instskip(NEXT) | instid1(VALU_DEP_1)
	v_lshlrev_b32_e32 v7, 1, v7
	v_add_lshl_u32 v43, v7, v39, 2
	ds_bpermute_b32 v12, v43, v3
	ds_bpermute_b32 v7, v43, v5
	v_cmpx_le_u32_e64 v44, v2
	s_cbranch_execz .LBB29_383
; %bb.382:
	s_waitcnt lgkmcnt(1)
	v_add_co_u32 v3, vcc_lo, v4, v12
	v_add_co_ci_u32_e32 v5, vcc_lo, 0, v5, vcc_lo
	s_delay_alu instid0(VALU_DEP_2) | instskip(SKIP_1) | instid1(VALU_DEP_2)
	v_add_co_u32 v4, vcc_lo, 0, v3
	s_waitcnt lgkmcnt(0)
	v_add_co_ci_u32_e32 v5, vcc_lo, v7, v5, vcc_lo
.LBB29_383:
	s_or_b32 exec_lo, exec_lo, s3
	v_cmp_gt_u32_e32 vcc_lo, 28, v39
	v_add_nc_u32_e32 v46, 4, v39
	s_mov_b32 s3, exec_lo
	s_waitcnt lgkmcnt(0)
	v_cndmask_b32_e64 v7, 0, 1, vcc_lo
	s_delay_alu instid0(VALU_DEP_1) | instskip(NEXT) | instid1(VALU_DEP_1)
	v_lshlrev_b32_e32 v7, 2, v7
	v_add_lshl_u32 v45, v7, v39, 2
	ds_bpermute_b32 v12, v45, v3
	ds_bpermute_b32 v7, v45, v5
	v_cmpx_le_u32_e64 v46, v2
	;; [unrolled: 22-line block ×4, first 2 shown]
	s_cbranch_execz .LBB29_389
; %bb.388:
	s_waitcnt lgkmcnt(1)
	v_add_co_u32 v2, vcc_lo, v4, v7
	v_add_co_ci_u32_e32 v5, vcc_lo, 0, v5, vcc_lo
	s_delay_alu instid0(VALU_DEP_2) | instskip(SKIP_1) | instid1(VALU_DEP_2)
	v_add_co_u32 v4, vcc_lo, v2, 0
	s_waitcnt lgkmcnt(0)
	v_add_co_ci_u32_e32 v5, vcc_lo, v5, v3, vcc_lo
.LBB29_389:
	s_or_b32 exec_lo, exec_lo, s3
	v_mov_b32_e32 v12, 0
	s_branch .LBB29_391
.LBB29_390:                             ;   in Loop: Header=BB29_391 Depth=1
	s_or_b32 exec_lo, exec_lo, s3
	v_add_co_u32 v4, vcc_lo, v4, v2
	v_subrev_nc_u32_e32 v11, 32, v11
	v_add_co_ci_u32_e32 v5, vcc_lo, v5, v3, vcc_lo
.LBB29_391:                             ; =>This Loop Header: Depth=1
                                        ;     Child Loop BB29_394 Depth 2
	v_and_b32_e32 v2, 0xff, v6
	s_delay_alu instid0(VALU_DEP_1) | instskip(SKIP_2) | instid1(VALU_DEP_1)
	v_cmp_ne_u16_e32 vcc_lo, 2, v2
	v_cndmask_b32_e64 v2, 0, 1, vcc_lo
	;;#ASMSTART
	;;#ASMEND
	v_cmp_ne_u32_e32 vcc_lo, 0, v2
	s_waitcnt lgkmcnt(0)
	v_dual_mov_b32 v2, v4 :: v_dual_mov_b32 v3, v5
	s_cmp_lg_u32 vcc_lo, exec_lo
	s_cbranch_scc1 .LBB29_406
; %bb.392:                              ;   in Loop: Header=BB29_391 Depth=1
	v_lshlrev_b64 v[4:5], 4, v[11:12]
	s_mov_b32 s3, exec_lo
	s_delay_alu instid0(VALU_DEP_1) | instskip(NEXT) | instid1(VALU_DEP_2)
	v_add_co_u32 v13, vcc_lo, s28, v4
	v_add_co_ci_u32_e32 v14, vcc_lo, s29, v5, vcc_lo
	;;#ASMSTART
	global_load_dwordx4 v[4:7], v[13:14] off glc	
s_waitcnt vmcnt(0)
	;;#ASMEND
	v_and_b32_e32 v7, 0xff, v5
	v_and_b32_e32 v51, 0xff00, v5
	;; [unrolled: 1-line block ×3, first 2 shown]
	v_or3_b32 v4, v4, 0, 0
	v_and_b32_e32 v5, 0xff000000, v5
	s_delay_alu instid0(VALU_DEP_4) | instskip(SKIP_1) | instid1(VALU_DEP_4)
	v_or3_b32 v7, 0, v7, v51
	v_and_b32_e32 v51, 0xff, v6
	v_or3_b32 v4, v4, 0, 0
	s_delay_alu instid0(VALU_DEP_3) | instskip(NEXT) | instid1(VALU_DEP_3)
	v_or3_b32 v5, v7, v52, v5
	v_cmpx_eq_u16_e32 0, v51
	s_cbranch_execz .LBB29_396
; %bb.393:                              ;   in Loop: Header=BB29_391 Depth=1
	s_mov_b32 s4, 0
.LBB29_394:                             ;   Parent Loop BB29_391 Depth=1
                                        ; =>  This Inner Loop Header: Depth=2
	;;#ASMSTART
	global_load_dwordx4 v[4:7], v[13:14] off glc	
s_waitcnt vmcnt(0)
	;;#ASMEND
	v_and_b32_e32 v7, 0xff, v6
	s_delay_alu instid0(VALU_DEP_1) | instskip(SKIP_1) | instid1(SALU_CYCLE_1)
	v_cmp_ne_u16_e32 vcc_lo, 0, v7
	s_or_b32 s4, vcc_lo, s4
	s_and_not1_b32 exec_lo, exec_lo, s4
	s_cbranch_execnz .LBB29_394
; %bb.395:                              ;   in Loop: Header=BB29_391 Depth=1
	s_or_b32 exec_lo, exec_lo, s4
.LBB29_396:                             ;   in Loop: Header=BB29_391 Depth=1
	s_delay_alu instid0(SALU_CYCLE_1)
	s_or_b32 exec_lo, exec_lo, s3
	v_and_b32_e32 v7, 0xff, v6
	ds_bpermute_b32 v51, v41, v4
	ds_bpermute_b32 v14, v41, v5
	v_mov_b32_e32 v13, v4
	s_mov_b32 s3, exec_lo
	v_cmp_eq_u16_e32 vcc_lo, 2, v7
	v_and_or_b32 v7, vcc_lo, v42, 0x80000000
	s_delay_alu instid0(VALU_DEP_1) | instskip(NEXT) | instid1(VALU_DEP_1)
	v_ctz_i32_b32_e32 v7, v7
	v_cmpx_lt_u32_e64 v39, v7
	s_cbranch_execz .LBB29_398
; %bb.397:                              ;   in Loop: Header=BB29_391 Depth=1
	s_waitcnt lgkmcnt(1)
	v_add_co_u32 v13, vcc_lo, v4, v51
	v_add_co_ci_u32_e32 v5, vcc_lo, 0, v5, vcc_lo
	s_delay_alu instid0(VALU_DEP_2) | instskip(SKIP_1) | instid1(VALU_DEP_2)
	v_add_co_u32 v4, vcc_lo, 0, v13
	s_waitcnt lgkmcnt(0)
	v_add_co_ci_u32_e32 v5, vcc_lo, v14, v5, vcc_lo
.LBB29_398:                             ;   in Loop: Header=BB29_391 Depth=1
	s_or_b32 exec_lo, exec_lo, s3
	s_waitcnt lgkmcnt(1)
	ds_bpermute_b32 v51, v43, v13
	s_waitcnt lgkmcnt(1)
	ds_bpermute_b32 v14, v43, v5
	s_mov_b32 s3, exec_lo
	v_cmpx_le_u32_e64 v44, v7
	s_cbranch_execz .LBB29_400
; %bb.399:                              ;   in Loop: Header=BB29_391 Depth=1
	s_waitcnt lgkmcnt(1)
	v_add_co_u32 v13, vcc_lo, v4, v51
	v_add_co_ci_u32_e32 v5, vcc_lo, 0, v5, vcc_lo
	s_delay_alu instid0(VALU_DEP_2) | instskip(SKIP_1) | instid1(VALU_DEP_2)
	v_add_co_u32 v4, vcc_lo, 0, v13
	s_waitcnt lgkmcnt(0)
	v_add_co_ci_u32_e32 v5, vcc_lo, v14, v5, vcc_lo
.LBB29_400:                             ;   in Loop: Header=BB29_391 Depth=1
	s_or_b32 exec_lo, exec_lo, s3
	s_waitcnt lgkmcnt(1)
	ds_bpermute_b32 v51, v45, v13
	s_waitcnt lgkmcnt(1)
	ds_bpermute_b32 v14, v45, v5
	s_mov_b32 s3, exec_lo
	v_cmpx_le_u32_e64 v46, v7
	;; [unrolled: 17-line block ×3, first 2 shown]
	s_cbranch_execz .LBB29_404
; %bb.403:                              ;   in Loop: Header=BB29_391 Depth=1
	s_waitcnt lgkmcnt(1)
	v_add_co_u32 v13, vcc_lo, v4, v51
	v_add_co_ci_u32_e32 v5, vcc_lo, 0, v5, vcc_lo
	s_delay_alu instid0(VALU_DEP_2) | instskip(SKIP_1) | instid1(VALU_DEP_2)
	v_add_co_u32 v4, vcc_lo, 0, v13
	s_waitcnt lgkmcnt(0)
	v_add_co_ci_u32_e32 v5, vcc_lo, v14, v5, vcc_lo
.LBB29_404:                             ;   in Loop: Header=BB29_391 Depth=1
	s_or_b32 exec_lo, exec_lo, s3
	s_waitcnt lgkmcnt(0)
	ds_bpermute_b32 v14, v49, v13
	ds_bpermute_b32 v13, v49, v5
	s_mov_b32 s3, exec_lo
	v_cmpx_le_u32_e64 v50, v7
	s_cbranch_execz .LBB29_390
; %bb.405:                              ;   in Loop: Header=BB29_391 Depth=1
	s_waitcnt lgkmcnt(1)
	v_add_co_u32 v4, vcc_lo, v4, v14
	v_add_co_ci_u32_e32 v5, vcc_lo, 0, v5, vcc_lo
	s_delay_alu instid0(VALU_DEP_2) | instskip(SKIP_1) | instid1(VALU_DEP_2)
	v_add_co_u32 v4, vcc_lo, v4, 0
	s_waitcnt lgkmcnt(0)
	v_add_co_ci_u32_e32 v5, vcc_lo, v5, v13, vcc_lo
	s_branch .LBB29_390
.LBB29_406:                             ;   in Loop: Header=BB29_391 Depth=1
                                        ; implicit-def: $vgpr4_vgpr5
	s_cbranch_execz .LBB29_391
; %bb.407:
	s_and_saveexec_b32 s3, s1
	s_cbranch_execz .LBB29_409
; %bb.408:
	s_add_i32 s4, s30, 32
	s_mov_b32 s5, 0
	v_add_co_u32 v4, vcc_lo, v2, v0
	s_lshl_b64 s[4:5], s[4:5], 4
	v_dual_mov_b32 v6, 2 :: v_dual_mov_b32 v7, 0
	s_add_u32 s4, s28, s4
	s_addc_u32 s5, s29, s5
	v_add_co_ci_u32_e32 v5, vcc_lo, v3, v1, vcc_lo
	v_dual_mov_b32 v12, s5 :: v_dual_mov_b32 v11, s4
	;;#ASMSTART
	global_store_dwordx4 v[11:12], v[4:7] off	
s_waitcnt vmcnt(0)
	;;#ASMEND
	ds_store_b128 v7, v[0:3] offset:64
.LBB29_409:
	s_or_b32 exec_lo, exec_lo, s3
	s_delay_alu instid0(SALU_CYCLE_1)
	s_and_b32 exec_lo, exec_lo, s0
	s_cbranch_execz .LBB29_411
; %bb.410:
	v_mov_b32_e32 v0, 0
	ds_store_b64 v0, v[2:3] offset:56
.LBB29_411:
	s_or_b32 exec_lo, exec_lo, s2
	v_mov_b32_e32 v0, 0
	s_waitcnt lgkmcnt(0)
	s_barrier
	buffer_gl0_inv
	ds_load_b64 v[2:3], v0 offset:56
	s_waitcnt lgkmcnt(0)
	s_barrier
	buffer_gl0_inv
	ds_load_b64 v[0:1], v0 offset:72
	s_waitcnt lgkmcnt(0)
	v_cndmask_b32_e64 v1, v40, v10, s1
	s_delay_alu instid0(VALU_DEP_1) | instskip(NEXT) | instid1(VALU_DEP_1)
	v_cndmask_b32_e64 v1, v1, 0, s0
	v_add_co_u32 v4, vcc_lo, v2, v1
	s_branch .LBB29_438
.LBB29_412:
                                        ; implicit-def: $vgpr0_vgpr1
                                        ; implicit-def: $vgpr4_vgpr5
	s_and_b32 vcc_lo, exec_lo, s1
	s_cbranch_vccz .LBB29_438
; %bb.413:
	v_dual_mov_b32 v2, 0 :: v_dual_and_b32 v3, 15, v39
	v_mov_b32_dpp v5, v8 row_shr:1 row_mask:0xf bank_mask:0xf
	v_dual_mov_b32 v0, v8 :: v_dual_mov_b32 v1, v9
	s_delay_alu instid0(VALU_DEP_3)
	v_mov_b32_dpp v4, v2 row_shr:1 row_mask:0xf bank_mask:0xf
	s_mov_b32 s1, exec_lo
	v_cmpx_ne_u32_e32 0, v3
; %bb.414:
	v_add_co_u32 v8, s2, v5, v8
	s_delay_alu instid0(VALU_DEP_1) | instskip(NEXT) | instid1(VALU_DEP_2)
	v_add_co_ci_u32_e64 v0, null, 0, 0, s2
	v_add_co_u32 v1, vcc_lo, 0, v8
	s_delay_alu instid0(VALU_DEP_2) | instskip(NEXT) | instid1(VALU_DEP_2)
	v_add_co_ci_u32_e32 v2, vcc_lo, v4, v0, vcc_lo
	v_mov_b32_e32 v0, v1
	s_delay_alu instid0(VALU_DEP_2)
	v_mov_b32_e32 v1, v2
; %bb.415:
	s_or_b32 exec_lo, exec_lo, s1
	v_mov_b32_dpp v5, v8 row_shr:2 row_mask:0xf bank_mask:0xf
	v_mov_b32_dpp v4, v2 row_shr:2 row_mask:0xf bank_mask:0xf
	s_mov_b32 s1, exec_lo
	v_cmpx_lt_u32_e32 1, v3
; %bb.416:
	s_delay_alu instid0(VALU_DEP_3) | instskip(SKIP_1) | instid1(VALU_DEP_2)
	v_add_co_u32 v8, vcc_lo, v0, v5
	v_add_co_ci_u32_e32 v0, vcc_lo, 0, v1, vcc_lo
	v_add_co_u32 v1, vcc_lo, 0, v8
	s_delay_alu instid0(VALU_DEP_2) | instskip(NEXT) | instid1(VALU_DEP_2)
	v_add_co_ci_u32_e32 v2, vcc_lo, v4, v0, vcc_lo
	v_mov_b32_e32 v0, v1
	s_delay_alu instid0(VALU_DEP_2)
	v_mov_b32_e32 v1, v2
; %bb.417:
	s_or_b32 exec_lo, exec_lo, s1
	v_mov_b32_dpp v5, v8 row_shr:4 row_mask:0xf bank_mask:0xf
	v_mov_b32_dpp v4, v2 row_shr:4 row_mask:0xf bank_mask:0xf
	s_mov_b32 s1, exec_lo
	v_cmpx_lt_u32_e32 3, v3
; %bb.418:
	s_delay_alu instid0(VALU_DEP_3) | instskip(SKIP_1) | instid1(VALU_DEP_2)
	v_add_co_u32 v8, vcc_lo, v0, v5
	v_add_co_ci_u32_e32 v0, vcc_lo, 0, v1, vcc_lo
	v_add_co_u32 v1, vcc_lo, 0, v8
	s_delay_alu instid0(VALU_DEP_2) | instskip(NEXT) | instid1(VALU_DEP_2)
	v_add_co_ci_u32_e32 v2, vcc_lo, v4, v0, vcc_lo
	v_mov_b32_e32 v0, v1
	s_delay_alu instid0(VALU_DEP_2)
	v_mov_b32_e32 v1, v2
; %bb.419:
	s_or_b32 exec_lo, exec_lo, s1
	v_mov_b32_dpp v5, v8 row_shr:8 row_mask:0xf bank_mask:0xf
	v_mov_b32_dpp v4, v2 row_shr:8 row_mask:0xf bank_mask:0xf
	s_mov_b32 s1, exec_lo
	v_cmpx_lt_u32_e32 7, v3
; %bb.420:
	s_delay_alu instid0(VALU_DEP_3) | instskip(SKIP_1) | instid1(VALU_DEP_2)
	v_add_co_u32 v8, vcc_lo, v0, v5
	v_add_co_ci_u32_e32 v1, vcc_lo, 0, v1, vcc_lo
	v_add_co_u32 v0, vcc_lo, 0, v8
	s_delay_alu instid0(VALU_DEP_2) | instskip(NEXT) | instid1(VALU_DEP_1)
	v_add_co_ci_u32_e32 v1, vcc_lo, v4, v1, vcc_lo
	v_mov_b32_e32 v2, v1
; %bb.421:
	s_or_b32 exec_lo, exec_lo, s1
	ds_swizzle_b32 v3, v8 offset:swizzle(BROADCAST,32,15)
	ds_swizzle_b32 v2, v2 offset:swizzle(BROADCAST,32,15)
	v_and_b32_e32 v4, 16, v39
	s_mov_b32 s1, exec_lo
	s_delay_alu instid0(VALU_DEP_1)
	v_cmpx_ne_u32_e32 0, v4
	s_cbranch_execz .LBB29_423
; %bb.422:
	s_waitcnt lgkmcnt(1)
	v_add_co_u32 v8, vcc_lo, v0, v3
	v_add_co_ci_u32_e32 v1, vcc_lo, 0, v1, vcc_lo
	s_delay_alu instid0(VALU_DEP_2) | instskip(SKIP_1) | instid1(VALU_DEP_2)
	v_add_co_u32 v0, vcc_lo, 0, v8
	s_waitcnt lgkmcnt(0)
	v_add_co_ci_u32_e32 v1, vcc_lo, v2, v1, vcc_lo
.LBB29_423:
	s_or_b32 exec_lo, exec_lo, s1
	s_waitcnt lgkmcnt(0)
	v_and_b32_e32 v2, 0x3e0, v16
	s_mov_b32 s1, exec_lo
	s_delay_alu instid0(VALU_DEP_1) | instskip(NEXT) | instid1(VALU_DEP_1)
	v_min_u32_e32 v2, 0xe0, v2
	v_or_b32_e32 v3, 31, v2
	v_lshrrev_b32_e32 v2, 5, v16
	s_delay_alu instid0(VALU_DEP_2)
	v_cmpx_eq_u32_e64 v3, v16
	s_cbranch_execz .LBB29_425
; %bb.424:
	s_delay_alu instid0(VALU_DEP_2)
	v_lshlrev_b32_e32 v3, 3, v2
	ds_store_b64 v3, v[0:1]
.LBB29_425:
	s_or_b32 exec_lo, exec_lo, s1
	s_delay_alu instid0(SALU_CYCLE_1)
	s_mov_b32 s1, exec_lo
	s_waitcnt lgkmcnt(0)
	s_barrier
	buffer_gl0_inv
	v_cmpx_gt_u32_e32 8, v16
	s_cbranch_execz .LBB29_433
; %bb.426:
	v_add_nc_u32_e32 v3, v15, v15
	s_mov_b32 s2, exec_lo
	ds_load_b64 v[0:1], v3
	s_waitcnt lgkmcnt(0)
	v_dual_mov_b32 v5, v0 :: v_dual_and_b32 v4, 7, v39
	v_mov_b32_dpp v7, v0 row_shr:1 row_mask:0xf bank_mask:0xf
	v_mov_b32_dpp v6, v1 row_shr:1 row_mask:0xf bank_mask:0xf
	s_delay_alu instid0(VALU_DEP_3)
	v_cmpx_ne_u32_e32 0, v4
; %bb.427:
	s_delay_alu instid0(VALU_DEP_3) | instskip(SKIP_1) | instid1(VALU_DEP_2)
	v_add_co_u32 v5, vcc_lo, v0, v7
	v_add_co_ci_u32_e32 v1, vcc_lo, 0, v1, vcc_lo
	v_add_co_u32 v0, vcc_lo, 0, v5
	s_delay_alu instid0(VALU_DEP_2)
	v_add_co_ci_u32_e32 v1, vcc_lo, v6, v1, vcc_lo
; %bb.428:
	s_or_b32 exec_lo, exec_lo, s2
	v_mov_b32_dpp v7, v5 row_shr:2 row_mask:0xf bank_mask:0xf
	s_delay_alu instid0(VALU_DEP_2)
	v_mov_b32_dpp v6, v1 row_shr:2 row_mask:0xf bank_mask:0xf
	s_mov_b32 s2, exec_lo
	v_cmpx_lt_u32_e32 1, v4
; %bb.429:
	s_delay_alu instid0(VALU_DEP_3) | instskip(SKIP_1) | instid1(VALU_DEP_2)
	v_add_co_u32 v5, vcc_lo, v0, v7
	v_add_co_ci_u32_e32 v1, vcc_lo, 0, v1, vcc_lo
	v_add_co_u32 v0, vcc_lo, 0, v5
	s_delay_alu instid0(VALU_DEP_2)
	v_add_co_ci_u32_e32 v1, vcc_lo, v6, v1, vcc_lo
; %bb.430:
	s_or_b32 exec_lo, exec_lo, s2
	v_mov_b32_dpp v6, v5 row_shr:4 row_mask:0xf bank_mask:0xf
	s_delay_alu instid0(VALU_DEP_2)
	v_mov_b32_dpp v5, v1 row_shr:4 row_mask:0xf bank_mask:0xf
	s_mov_b32 s2, exec_lo
	v_cmpx_lt_u32_e32 3, v4
; %bb.431:
	s_delay_alu instid0(VALU_DEP_3) | instskip(SKIP_1) | instid1(VALU_DEP_2)
	v_add_co_u32 v0, vcc_lo, v0, v6
	v_add_co_ci_u32_e32 v1, vcc_lo, 0, v1, vcc_lo
	v_add_co_u32 v0, vcc_lo, v0, 0
	s_delay_alu instid0(VALU_DEP_2)
	v_add_co_ci_u32_e32 v1, vcc_lo, v1, v5, vcc_lo
; %bb.432:
	s_or_b32 exec_lo, exec_lo, s2
	ds_store_b64 v3, v[0:1]
.LBB29_433:
	s_or_b32 exec_lo, exec_lo, s1
	s_delay_alu instid0(SALU_CYCLE_1)
	s_mov_b32 s1, exec_lo
	v_mov_b32_e32 v0, 0
	v_mov_b32_e32 v1, 0
	s_waitcnt lgkmcnt(0)
	s_barrier
	buffer_gl0_inv
	v_cmpx_lt_u32_e32 31, v16
	s_cbranch_execz .LBB29_435
; %bb.434:
	v_lshl_add_u32 v0, v2, 3, -8
	ds_load_b64 v[0:1], v0
.LBB29_435:
	s_or_b32 exec_lo, exec_lo, s1
	s_waitcnt lgkmcnt(0)
	v_add_nc_u32_e32 v1, -1, v39
	v_add_nc_u32_e32 v2, v8, v0
	s_delay_alu instid0(VALU_DEP_2) | instskip(SKIP_2) | instid1(VALU_DEP_2)
	v_cmp_gt_i32_e32 vcc_lo, 0, v1
	v_cndmask_b32_e32 v1, v1, v39, vcc_lo
	v_cmp_eq_u32_e32 vcc_lo, 0, v39
	v_lshlrev_b32_e32 v1, 2, v1
	ds_bpermute_b32 v1, v1, v2
	s_waitcnt lgkmcnt(0)
	v_dual_mov_b32 v3, 0 :: v_dual_cndmask_b32 v4, v1, v0
	s_and_saveexec_b32 s1, s0
	s_cbranch_execz .LBB29_437
; %bb.436:
	s_add_u32 s2, s28, 0x200
	s_addc_u32 s3, s29, 0
	ds_load_b64 v[0:1], v3 offset:56
	v_mov_b32_e32 v6, s3
	v_dual_mov_b32 v2, 2 :: v_dual_mov_b32 v5, s2
	s_waitcnt lgkmcnt(0)
	;;#ASMSTART
	global_store_dwordx4 v[5:6], v[0:3] off	
s_waitcnt vmcnt(0)
	;;#ASMEND
.LBB29_437:
	s_or_b32 exec_lo, exec_lo, s1
	v_mov_b32_e32 v0, 0
	v_mov_b32_e32 v1, 0
.LBB29_438:
	s_delay_alu instid0(VALU_DEP_1)
	v_sub_nc_u32_e32 v0, v4, v0
	s_xor_b32 s0, s12, -1
	s_xor_b32 s1, s13, -1
	;; [unrolled: 1-line block ×5, first 2 shown]
	s_barrier
	buffer_gl0_inv
	s_and_saveexec_b32 s5, s15
	s_cbranch_execnz .LBB29_466
; %bb.439:
	s_or_b32 exec_lo, exec_lo, s5
	s_and_saveexec_b32 s5, s4
	s_cbranch_execnz .LBB29_467
.LBB29_440:
	s_or_b32 exec_lo, exec_lo, s5
	s_and_saveexec_b32 s4, s3
	s_cbranch_execnz .LBB29_468
.LBB29_441:
	s_or_b32 exec_lo, exec_lo, s4
	s_and_saveexec_b32 s3, s2
	s_cbranch_execnz .LBB29_469
.LBB29_442:
	s_or_b32 exec_lo, exec_lo, s3
	s_and_saveexec_b32 s2, s1
	s_cbranch_execnz .LBB29_470
.LBB29_443:
	s_or_b32 exec_lo, exec_lo, s2
	s_and_saveexec_b32 s1, s0
	s_cbranch_execz .LBB29_445
.LBB29_444:
	v_lshlrev_b32_e32 v1, 2, v0
	v_add_nc_u32_e32 v0, 1, v0
	ds_store_b32 v1, v22 offset:1024
.LBB29_445:
	s_or_b32 exec_lo, exec_lo, s1
	v_and_b32_e32 v1, 64, v38
	s_mov_b32 s0, exec_lo
	s_delay_alu instid0(VALU_DEP_1)
	v_cmpx_ne_u32_e32 0, v1
	s_cbranch_execz .LBB29_447
; %bb.446:
	v_lshlrev_b32_e32 v1, 2, v0
	v_add_nc_u32_e32 v0, 1, v0
	ds_store_b32 v1, v23 offset:1024
.LBB29_447:
	s_or_b32 exec_lo, exec_lo, s0
	v_and_b32_e32 v1, 0x80, v37
	s_mov_b32 s0, exec_lo
	s_delay_alu instid0(VALU_DEP_1)
	v_cmpx_ne_u32_e32 0, v1
	s_cbranch_execz .LBB29_449
; %bb.448:
	v_lshlrev_b32_e32 v1, 2, v0
	v_add_nc_u32_e32 v0, 1, v0
	ds_store_b32 v1, v24 offset:1024
.LBB29_449:
	;; [unrolled: 11-line block ×9, first 2 shown]
	s_or_b32 exec_lo, exec_lo, s0
	v_and_b32_e32 v1, 0x8000, v33
	s_mov_b32 s0, exec_lo
	s_delay_alu instid0(VALU_DEP_1)
	v_cmpx_ne_u32_e32 0, v1
	s_cbranch_execz .LBB29_465
; %bb.464:
	v_lshlrev_b32_e32 v0, 2, v0
	ds_store_b32 v0, v32 offset:1024
.LBB29_465:
	s_or_b32 exec_lo, exec_lo, s0
	s_waitcnt lgkmcnt(0)
	s_barrier
	buffer_gl0_inv
	s_endpgm
.LBB29_466:
	v_add_nc_u32_e32 v1, 1, v0
	v_lshlrev_b32_e32 v2, 2, v0
	s_delay_alu instid0(VALU_DEP_2)
	v_mov_b32_e32 v0, v1
	ds_store_b32 v2, v18 offset:1024
	s_or_b32 exec_lo, exec_lo, s5
	s_and_saveexec_b32 s5, s4
	s_cbranch_execz .LBB29_440
.LBB29_467:
	v_lshlrev_b32_e32 v1, 2, v0
	v_add_nc_u32_e32 v0, 1, v0
	ds_store_b32 v1, v17 offset:1024
	s_or_b32 exec_lo, exec_lo, s5
	s_and_saveexec_b32 s4, s3
	s_cbranch_execz .LBB29_441
.LBB29_468:
	v_lshlrev_b32_e32 v1, 2, v0
	v_add_nc_u32_e32 v0, 1, v0
	ds_store_b32 v1, v19 offset:1024
	s_or_b32 exec_lo, exec_lo, s4
	s_and_saveexec_b32 s3, s2
	s_cbranch_execz .LBB29_442
.LBB29_469:
	v_lshlrev_b32_e32 v1, 2, v0
	v_add_nc_u32_e32 v0, 1, v0
	ds_store_b32 v1, v20 offset:1024
	s_or_b32 exec_lo, exec_lo, s3
	s_and_saveexec_b32 s2, s1
	s_cbranch_execz .LBB29_443
.LBB29_470:
	v_lshlrev_b32_e32 v1, 2, v0
	v_add_nc_u32_e32 v0, 1, v0
	ds_store_b32 v1, v21 offset:1024
	s_or_b32 exec_lo, exec_lo, s2
	s_and_saveexec_b32 s1, s0
	s_cbranch_execnz .LBB29_444
	s_branch .LBB29_445
	.section	.rodata,"a",@progbits
	.p2align	6, 0x0
	.amdhsa_kernel _ZN6thrust23THRUST_200600_302600_NS11hip_rocprim16__set_operations22lookback_set_op_kernelIN7rocprim17ROCPRIM_400000_NS13kernel_configILj256ELj16ELj4294967295EEELb0ENS0_6detail15normal_iteratorINS0_10device_ptrIKiEEEESD_PiSE_lNS0_16discard_iteratorINS0_11use_defaultEEESE_NS0_4lessIiEENS2_23serial_set_intersectionENS5_6detail19lookback_scan_stateIlLb0ELb1EEEEEvT1_T2_T3_T4_T6_T7_T8_T9_PNS0_4pairIT5_SX_EEPSX_T10_NSL_16ordered_block_idIjEE
		.amdhsa_group_segment_fixed_size 36868
		.amdhsa_private_segment_fixed_size 0
		.amdhsa_kernarg_size 352
		.amdhsa_user_sgpr_count 15
		.amdhsa_user_sgpr_dispatch_ptr 0
		.amdhsa_user_sgpr_queue_ptr 0
		.amdhsa_user_sgpr_kernarg_segment_ptr 1
		.amdhsa_user_sgpr_dispatch_id 0
		.amdhsa_user_sgpr_private_segment_size 0
		.amdhsa_wavefront_size32 1
		.amdhsa_uses_dynamic_stack 0
		.amdhsa_enable_private_segment 0
		.amdhsa_system_sgpr_workgroup_id_x 1
		.amdhsa_system_sgpr_workgroup_id_y 0
		.amdhsa_system_sgpr_workgroup_id_z 0
		.amdhsa_system_sgpr_workgroup_info 0
		.amdhsa_system_vgpr_workitem_id 2
		.amdhsa_next_free_vgpr 74
		.amdhsa_next_free_sgpr 42
		.amdhsa_reserve_vcc 1
		.amdhsa_float_round_mode_32 0
		.amdhsa_float_round_mode_16_64 0
		.amdhsa_float_denorm_mode_32 3
		.amdhsa_float_denorm_mode_16_64 3
		.amdhsa_dx10_clamp 1
		.amdhsa_ieee_mode 1
		.amdhsa_fp16_overflow 0
		.amdhsa_workgroup_processor_mode 1
		.amdhsa_memory_ordered 1
		.amdhsa_forward_progress 0
		.amdhsa_shared_vgpr_count 0
		.amdhsa_exception_fp_ieee_invalid_op 0
		.amdhsa_exception_fp_denorm_src 0
		.amdhsa_exception_fp_ieee_div_zero 0
		.amdhsa_exception_fp_ieee_overflow 0
		.amdhsa_exception_fp_ieee_underflow 0
		.amdhsa_exception_fp_ieee_inexact 0
		.amdhsa_exception_int_div_zero 0
	.end_amdhsa_kernel
	.section	.text._ZN6thrust23THRUST_200600_302600_NS11hip_rocprim16__set_operations22lookback_set_op_kernelIN7rocprim17ROCPRIM_400000_NS13kernel_configILj256ELj16ELj4294967295EEELb0ENS0_6detail15normal_iteratorINS0_10device_ptrIKiEEEESD_PiSE_lNS0_16discard_iteratorINS0_11use_defaultEEESE_NS0_4lessIiEENS2_23serial_set_intersectionENS5_6detail19lookback_scan_stateIlLb0ELb1EEEEEvT1_T2_T3_T4_T6_T7_T8_T9_PNS0_4pairIT5_SX_EEPSX_T10_NSL_16ordered_block_idIjEE,"axG",@progbits,_ZN6thrust23THRUST_200600_302600_NS11hip_rocprim16__set_operations22lookback_set_op_kernelIN7rocprim17ROCPRIM_400000_NS13kernel_configILj256ELj16ELj4294967295EEELb0ENS0_6detail15normal_iteratorINS0_10device_ptrIKiEEEESD_PiSE_lNS0_16discard_iteratorINS0_11use_defaultEEESE_NS0_4lessIiEENS2_23serial_set_intersectionENS5_6detail19lookback_scan_stateIlLb0ELb1EEEEEvT1_T2_T3_T4_T6_T7_T8_T9_PNS0_4pairIT5_SX_EEPSX_T10_NSL_16ordered_block_idIjEE,comdat
.Lfunc_end29:
	.size	_ZN6thrust23THRUST_200600_302600_NS11hip_rocprim16__set_operations22lookback_set_op_kernelIN7rocprim17ROCPRIM_400000_NS13kernel_configILj256ELj16ELj4294967295EEELb0ENS0_6detail15normal_iteratorINS0_10device_ptrIKiEEEESD_PiSE_lNS0_16discard_iteratorINS0_11use_defaultEEESE_NS0_4lessIiEENS2_23serial_set_intersectionENS5_6detail19lookback_scan_stateIlLb0ELb1EEEEEvT1_T2_T3_T4_T6_T7_T8_T9_PNS0_4pairIT5_SX_EEPSX_T10_NSL_16ordered_block_idIjEE, .Lfunc_end29-_ZN6thrust23THRUST_200600_302600_NS11hip_rocprim16__set_operations22lookback_set_op_kernelIN7rocprim17ROCPRIM_400000_NS13kernel_configILj256ELj16ELj4294967295EEELb0ENS0_6detail15normal_iteratorINS0_10device_ptrIKiEEEESD_PiSE_lNS0_16discard_iteratorINS0_11use_defaultEEESE_NS0_4lessIiEENS2_23serial_set_intersectionENS5_6detail19lookback_scan_stateIlLb0ELb1EEEEEvT1_T2_T3_T4_T6_T7_T8_T9_PNS0_4pairIT5_SX_EEPSX_T10_NSL_16ordered_block_idIjEE
                                        ; -- End function
	.section	.AMDGPU.csdata,"",@progbits
; Kernel info:
; codeLenInByte = 20116
; NumSgprs: 44
; NumVgprs: 74
; ScratchSize: 0
; MemoryBound: 0
; FloatMode: 240
; IeeeMode: 1
; LDSByteSize: 36868 bytes/workgroup (compile time only)
; SGPRBlocks: 5
; VGPRBlocks: 9
; NumSGPRsForWavesPerEU: 44
; NumVGPRsForWavesPerEU: 74
; Occupancy: 6
; WaveLimiterHint : 1
; COMPUTE_PGM_RSRC2:SCRATCH_EN: 0
; COMPUTE_PGM_RSRC2:USER_SGPR: 15
; COMPUTE_PGM_RSRC2:TRAP_HANDLER: 0
; COMPUTE_PGM_RSRC2:TGID_X_EN: 1
; COMPUTE_PGM_RSRC2:TGID_Y_EN: 0
; COMPUTE_PGM_RSRC2:TGID_Z_EN: 0
; COMPUTE_PGM_RSRC2:TIDIG_COMP_CNT: 2
	.text
	.p2alignl 7, 3214868480
	.fill 96, 4, 3214868480
	.type	__hip_cuid_e9847c23c79dd190,@object ; @__hip_cuid_e9847c23c79dd190
	.section	.bss,"aw",@nobits
	.globl	__hip_cuid_e9847c23c79dd190
__hip_cuid_e9847c23c79dd190:
	.byte	0                               ; 0x0
	.size	__hip_cuid_e9847c23c79dd190, 1

	.ident	"AMD clang version 19.0.0git (https://github.com/RadeonOpenCompute/llvm-project roc-6.4.0 25133 c7fe45cf4b819c5991fe208aaa96edf142730f1d)"
	.section	".note.GNU-stack","",@progbits
	.addrsig
	.addrsig_sym __hip_cuid_e9847c23c79dd190
	.amdgpu_metadata
---
amdhsa.kernels:
  - .args:
      - .offset:         0
        .size:           16
        .value_kind:     by_value
      - .offset:         16
        .size:           8
        .value_kind:     by_value
      - .offset:         24
        .size:           8
        .value_kind:     by_value
    .group_segment_fixed_size: 0
    .kernarg_segment_align: 8
    .kernarg_segment_size: 32
    .language:       OpenCL C
    .language_version:
      - 2
      - 0
    .max_flat_workgroup_size: 256
    .name:           _ZN6thrust23THRUST_200600_302600_NS11hip_rocprim14__parallel_for6kernelILj256ENS1_20__uninitialized_fill7functorINS0_10device_ptrIiEEiEEmLj1EEEvT0_T1_SA_
    .private_segment_fixed_size: 0
    .sgpr_count:     18
    .sgpr_spill_count: 0
    .symbol:         _ZN6thrust23THRUST_200600_302600_NS11hip_rocprim14__parallel_for6kernelILj256ENS1_20__uninitialized_fill7functorINS0_10device_ptrIiEEiEEmLj1EEEvT0_T1_SA_.kd
    .uniform_work_group_size: 1
    .uses_dynamic_stack: false
    .vgpr_count:     3
    .vgpr_spill_count: 0
    .wavefront_size: 32
    .workgroup_processor_mode: 1
  - .args:
      - .offset:         0
        .size:           48
        .value_kind:     by_value
    .group_segment_fixed_size: 0
    .kernarg_segment_align: 8
    .kernarg_segment_size: 48
    .language:       OpenCL C
    .language_version:
      - 2
      - 0
    .max_flat_workgroup_size: 256
    .name:           _ZN7rocprim17ROCPRIM_400000_NS6detail17trampoline_kernelINS0_14default_configENS1_21merge_config_selectorIiNS0_10empty_typeEEEZNS1_10merge_implIS3_N6thrust23THRUST_200600_302600_NS6detail15normal_iteratorINS9_10device_ptrIKiEEEESF_NSB_INSC_IiEEEEPS5_SI_SI_NS9_4lessIiEEEE10hipError_tPvRmT0_T1_T2_T3_T4_T5_mmT6_P12ihipStream_tbEUlT_E_NS1_11comp_targetILNS1_3genE0ELNS1_11target_archE4294967295ELNS1_3gpuE0ELNS1_3repE0EEENS1_30default_config_static_selectorELNS0_4arch9wavefront6targetE0EEEvSP_
    .private_segment_fixed_size: 0
    .sgpr_count:     0
    .sgpr_spill_count: 0
    .symbol:         _ZN7rocprim17ROCPRIM_400000_NS6detail17trampoline_kernelINS0_14default_configENS1_21merge_config_selectorIiNS0_10empty_typeEEEZNS1_10merge_implIS3_N6thrust23THRUST_200600_302600_NS6detail15normal_iteratorINS9_10device_ptrIKiEEEESF_NSB_INSC_IiEEEEPS5_SI_SI_NS9_4lessIiEEEE10hipError_tPvRmT0_T1_T2_T3_T4_T5_mmT6_P12ihipStream_tbEUlT_E_NS1_11comp_targetILNS1_3genE0ELNS1_11target_archE4294967295ELNS1_3gpuE0ELNS1_3repE0EEENS1_30default_config_static_selectorELNS0_4arch9wavefront6targetE0EEEvSP_.kd
    .uniform_work_group_size: 1
    .uses_dynamic_stack: false
    .vgpr_count:     0
    .vgpr_spill_count: 0
    .wavefront_size: 32
    .workgroup_processor_mode: 1
  - .args:
      - .offset:         0
        .size:           48
        .value_kind:     by_value
    .group_segment_fixed_size: 0
    .kernarg_segment_align: 8
    .kernarg_segment_size: 48
    .language:       OpenCL C
    .language_version:
      - 2
      - 0
    .max_flat_workgroup_size: 256
    .name:           _ZN7rocprim17ROCPRIM_400000_NS6detail17trampoline_kernelINS0_14default_configENS1_21merge_config_selectorIiNS0_10empty_typeEEEZNS1_10merge_implIS3_N6thrust23THRUST_200600_302600_NS6detail15normal_iteratorINS9_10device_ptrIKiEEEESF_NSB_INSC_IiEEEEPS5_SI_SI_NS9_4lessIiEEEE10hipError_tPvRmT0_T1_T2_T3_T4_T5_mmT6_P12ihipStream_tbEUlT_E_NS1_11comp_targetILNS1_3genE5ELNS1_11target_archE942ELNS1_3gpuE9ELNS1_3repE0EEENS1_30default_config_static_selectorELNS0_4arch9wavefront6targetE0EEEvSP_
    .private_segment_fixed_size: 0
    .sgpr_count:     0
    .sgpr_spill_count: 0
    .symbol:         _ZN7rocprim17ROCPRIM_400000_NS6detail17trampoline_kernelINS0_14default_configENS1_21merge_config_selectorIiNS0_10empty_typeEEEZNS1_10merge_implIS3_N6thrust23THRUST_200600_302600_NS6detail15normal_iteratorINS9_10device_ptrIKiEEEESF_NSB_INSC_IiEEEEPS5_SI_SI_NS9_4lessIiEEEE10hipError_tPvRmT0_T1_T2_T3_T4_T5_mmT6_P12ihipStream_tbEUlT_E_NS1_11comp_targetILNS1_3genE5ELNS1_11target_archE942ELNS1_3gpuE9ELNS1_3repE0EEENS1_30default_config_static_selectorELNS0_4arch9wavefront6targetE0EEEvSP_.kd
    .uniform_work_group_size: 1
    .uses_dynamic_stack: false
    .vgpr_count:     0
    .vgpr_spill_count: 0
    .wavefront_size: 32
    .workgroup_processor_mode: 1
  - .args:
      - .offset:         0
        .size:           48
        .value_kind:     by_value
    .group_segment_fixed_size: 0
    .kernarg_segment_align: 8
    .kernarg_segment_size: 48
    .language:       OpenCL C
    .language_version:
      - 2
      - 0
    .max_flat_workgroup_size: 256
    .name:           _ZN7rocprim17ROCPRIM_400000_NS6detail17trampoline_kernelINS0_14default_configENS1_21merge_config_selectorIiNS0_10empty_typeEEEZNS1_10merge_implIS3_N6thrust23THRUST_200600_302600_NS6detail15normal_iteratorINS9_10device_ptrIKiEEEESF_NSB_INSC_IiEEEEPS5_SI_SI_NS9_4lessIiEEEE10hipError_tPvRmT0_T1_T2_T3_T4_T5_mmT6_P12ihipStream_tbEUlT_E_NS1_11comp_targetILNS1_3genE4ELNS1_11target_archE910ELNS1_3gpuE8ELNS1_3repE0EEENS1_30default_config_static_selectorELNS0_4arch9wavefront6targetE0EEEvSP_
    .private_segment_fixed_size: 0
    .sgpr_count:     0
    .sgpr_spill_count: 0
    .symbol:         _ZN7rocprim17ROCPRIM_400000_NS6detail17trampoline_kernelINS0_14default_configENS1_21merge_config_selectorIiNS0_10empty_typeEEEZNS1_10merge_implIS3_N6thrust23THRUST_200600_302600_NS6detail15normal_iteratorINS9_10device_ptrIKiEEEESF_NSB_INSC_IiEEEEPS5_SI_SI_NS9_4lessIiEEEE10hipError_tPvRmT0_T1_T2_T3_T4_T5_mmT6_P12ihipStream_tbEUlT_E_NS1_11comp_targetILNS1_3genE4ELNS1_11target_archE910ELNS1_3gpuE8ELNS1_3repE0EEENS1_30default_config_static_selectorELNS0_4arch9wavefront6targetE0EEEvSP_.kd
    .uniform_work_group_size: 1
    .uses_dynamic_stack: false
    .vgpr_count:     0
    .vgpr_spill_count: 0
    .wavefront_size: 32
    .workgroup_processor_mode: 1
  - .args:
      - .offset:         0
        .size:           48
        .value_kind:     by_value
    .group_segment_fixed_size: 0
    .kernarg_segment_align: 8
    .kernarg_segment_size: 48
    .language:       OpenCL C
    .language_version:
      - 2
      - 0
    .max_flat_workgroup_size: 256
    .name:           _ZN7rocprim17ROCPRIM_400000_NS6detail17trampoline_kernelINS0_14default_configENS1_21merge_config_selectorIiNS0_10empty_typeEEEZNS1_10merge_implIS3_N6thrust23THRUST_200600_302600_NS6detail15normal_iteratorINS9_10device_ptrIKiEEEESF_NSB_INSC_IiEEEEPS5_SI_SI_NS9_4lessIiEEEE10hipError_tPvRmT0_T1_T2_T3_T4_T5_mmT6_P12ihipStream_tbEUlT_E_NS1_11comp_targetILNS1_3genE3ELNS1_11target_archE908ELNS1_3gpuE7ELNS1_3repE0EEENS1_30default_config_static_selectorELNS0_4arch9wavefront6targetE0EEEvSP_
    .private_segment_fixed_size: 0
    .sgpr_count:     0
    .sgpr_spill_count: 0
    .symbol:         _ZN7rocprim17ROCPRIM_400000_NS6detail17trampoline_kernelINS0_14default_configENS1_21merge_config_selectorIiNS0_10empty_typeEEEZNS1_10merge_implIS3_N6thrust23THRUST_200600_302600_NS6detail15normal_iteratorINS9_10device_ptrIKiEEEESF_NSB_INSC_IiEEEEPS5_SI_SI_NS9_4lessIiEEEE10hipError_tPvRmT0_T1_T2_T3_T4_T5_mmT6_P12ihipStream_tbEUlT_E_NS1_11comp_targetILNS1_3genE3ELNS1_11target_archE908ELNS1_3gpuE7ELNS1_3repE0EEENS1_30default_config_static_selectorELNS0_4arch9wavefront6targetE0EEEvSP_.kd
    .uniform_work_group_size: 1
    .uses_dynamic_stack: false
    .vgpr_count:     0
    .vgpr_spill_count: 0
    .wavefront_size: 32
    .workgroup_processor_mode: 1
  - .args:
      - .offset:         0
        .size:           48
        .value_kind:     by_value
    .group_segment_fixed_size: 0
    .kernarg_segment_align: 8
    .kernarg_segment_size: 48
    .language:       OpenCL C
    .language_version:
      - 2
      - 0
    .max_flat_workgroup_size: 256
    .name:           _ZN7rocprim17ROCPRIM_400000_NS6detail17trampoline_kernelINS0_14default_configENS1_21merge_config_selectorIiNS0_10empty_typeEEEZNS1_10merge_implIS3_N6thrust23THRUST_200600_302600_NS6detail15normal_iteratorINS9_10device_ptrIKiEEEESF_NSB_INSC_IiEEEEPS5_SI_SI_NS9_4lessIiEEEE10hipError_tPvRmT0_T1_T2_T3_T4_T5_mmT6_P12ihipStream_tbEUlT_E_NS1_11comp_targetILNS1_3genE2ELNS1_11target_archE906ELNS1_3gpuE6ELNS1_3repE0EEENS1_30default_config_static_selectorELNS0_4arch9wavefront6targetE0EEEvSP_
    .private_segment_fixed_size: 0
    .sgpr_count:     0
    .sgpr_spill_count: 0
    .symbol:         _ZN7rocprim17ROCPRIM_400000_NS6detail17trampoline_kernelINS0_14default_configENS1_21merge_config_selectorIiNS0_10empty_typeEEEZNS1_10merge_implIS3_N6thrust23THRUST_200600_302600_NS6detail15normal_iteratorINS9_10device_ptrIKiEEEESF_NSB_INSC_IiEEEEPS5_SI_SI_NS9_4lessIiEEEE10hipError_tPvRmT0_T1_T2_T3_T4_T5_mmT6_P12ihipStream_tbEUlT_E_NS1_11comp_targetILNS1_3genE2ELNS1_11target_archE906ELNS1_3gpuE6ELNS1_3repE0EEENS1_30default_config_static_selectorELNS0_4arch9wavefront6targetE0EEEvSP_.kd
    .uniform_work_group_size: 1
    .uses_dynamic_stack: false
    .vgpr_count:     0
    .vgpr_spill_count: 0
    .wavefront_size: 32
    .workgroup_processor_mode: 1
  - .args:
      - .offset:         0
        .size:           48
        .value_kind:     by_value
    .group_segment_fixed_size: 0
    .kernarg_segment_align: 8
    .kernarg_segment_size: 48
    .language:       OpenCL C
    .language_version:
      - 2
      - 0
    .max_flat_workgroup_size: 1024
    .name:           _ZN7rocprim17ROCPRIM_400000_NS6detail17trampoline_kernelINS0_14default_configENS1_21merge_config_selectorIiNS0_10empty_typeEEEZNS1_10merge_implIS3_N6thrust23THRUST_200600_302600_NS6detail15normal_iteratorINS9_10device_ptrIKiEEEESF_NSB_INSC_IiEEEEPS5_SI_SI_NS9_4lessIiEEEE10hipError_tPvRmT0_T1_T2_T3_T4_T5_mmT6_P12ihipStream_tbEUlT_E_NS1_11comp_targetILNS1_3genE10ELNS1_11target_archE1201ELNS1_3gpuE5ELNS1_3repE0EEENS1_30default_config_static_selectorELNS0_4arch9wavefront6targetE0EEEvSP_
    .private_segment_fixed_size: 0
    .sgpr_count:     0
    .sgpr_spill_count: 0
    .symbol:         _ZN7rocprim17ROCPRIM_400000_NS6detail17trampoline_kernelINS0_14default_configENS1_21merge_config_selectorIiNS0_10empty_typeEEEZNS1_10merge_implIS3_N6thrust23THRUST_200600_302600_NS6detail15normal_iteratorINS9_10device_ptrIKiEEEESF_NSB_INSC_IiEEEEPS5_SI_SI_NS9_4lessIiEEEE10hipError_tPvRmT0_T1_T2_T3_T4_T5_mmT6_P12ihipStream_tbEUlT_E_NS1_11comp_targetILNS1_3genE10ELNS1_11target_archE1201ELNS1_3gpuE5ELNS1_3repE0EEENS1_30default_config_static_selectorELNS0_4arch9wavefront6targetE0EEEvSP_.kd
    .uniform_work_group_size: 1
    .uses_dynamic_stack: false
    .vgpr_count:     0
    .vgpr_spill_count: 0
    .wavefront_size: 32
    .workgroup_processor_mode: 1
  - .args:
      - .offset:         0
        .size:           48
        .value_kind:     by_value
    .group_segment_fixed_size: 0
    .kernarg_segment_align: 8
    .kernarg_segment_size: 48
    .language:       OpenCL C
    .language_version:
      - 2
      - 0
    .max_flat_workgroup_size: 1024
    .name:           _ZN7rocprim17ROCPRIM_400000_NS6detail17trampoline_kernelINS0_14default_configENS1_21merge_config_selectorIiNS0_10empty_typeEEEZNS1_10merge_implIS3_N6thrust23THRUST_200600_302600_NS6detail15normal_iteratorINS9_10device_ptrIKiEEEESF_NSB_INSC_IiEEEEPS5_SI_SI_NS9_4lessIiEEEE10hipError_tPvRmT0_T1_T2_T3_T4_T5_mmT6_P12ihipStream_tbEUlT_E_NS1_11comp_targetILNS1_3genE10ELNS1_11target_archE1200ELNS1_3gpuE4ELNS1_3repE0EEENS1_30default_config_static_selectorELNS0_4arch9wavefront6targetE0EEEvSP_
    .private_segment_fixed_size: 0
    .sgpr_count:     0
    .sgpr_spill_count: 0
    .symbol:         _ZN7rocprim17ROCPRIM_400000_NS6detail17trampoline_kernelINS0_14default_configENS1_21merge_config_selectorIiNS0_10empty_typeEEEZNS1_10merge_implIS3_N6thrust23THRUST_200600_302600_NS6detail15normal_iteratorINS9_10device_ptrIKiEEEESF_NSB_INSC_IiEEEEPS5_SI_SI_NS9_4lessIiEEEE10hipError_tPvRmT0_T1_T2_T3_T4_T5_mmT6_P12ihipStream_tbEUlT_E_NS1_11comp_targetILNS1_3genE10ELNS1_11target_archE1200ELNS1_3gpuE4ELNS1_3repE0EEENS1_30default_config_static_selectorELNS0_4arch9wavefront6targetE0EEEvSP_.kd
    .uniform_work_group_size: 1
    .uses_dynamic_stack: false
    .vgpr_count:     0
    .vgpr_spill_count: 0
    .wavefront_size: 32
    .workgroup_processor_mode: 1
  - .args:
      - .offset:         0
        .size:           48
        .value_kind:     by_value
      - .offset:         48
        .size:           4
        .value_kind:     hidden_block_count_x
      - .offset:         52
        .size:           4
        .value_kind:     hidden_block_count_y
      - .offset:         56
        .size:           4
        .value_kind:     hidden_block_count_z
      - .offset:         60
        .size:           2
        .value_kind:     hidden_group_size_x
      - .offset:         62
        .size:           2
        .value_kind:     hidden_group_size_y
      - .offset:         64
        .size:           2
        .value_kind:     hidden_group_size_z
      - .offset:         66
        .size:           2
        .value_kind:     hidden_remainder_x
      - .offset:         68
        .size:           2
        .value_kind:     hidden_remainder_y
      - .offset:         70
        .size:           2
        .value_kind:     hidden_remainder_z
      - .offset:         88
        .size:           8
        .value_kind:     hidden_global_offset_x
      - .offset:         96
        .size:           8
        .value_kind:     hidden_global_offset_y
      - .offset:         104
        .size:           8
        .value_kind:     hidden_global_offset_z
      - .offset:         112
        .size:           2
        .value_kind:     hidden_grid_dims
    .group_segment_fixed_size: 0
    .kernarg_segment_align: 8
    .kernarg_segment_size: 304
    .language:       OpenCL C
    .language_version:
      - 2
      - 0
    .max_flat_workgroup_size: 1024
    .name:           _ZN7rocprim17ROCPRIM_400000_NS6detail17trampoline_kernelINS0_14default_configENS1_21merge_config_selectorIiNS0_10empty_typeEEEZNS1_10merge_implIS3_N6thrust23THRUST_200600_302600_NS6detail15normal_iteratorINS9_10device_ptrIKiEEEESF_NSB_INSC_IiEEEEPS5_SI_SI_NS9_4lessIiEEEE10hipError_tPvRmT0_T1_T2_T3_T4_T5_mmT6_P12ihipStream_tbEUlT_E_NS1_11comp_targetILNS1_3genE9ELNS1_11target_archE1100ELNS1_3gpuE3ELNS1_3repE0EEENS1_30default_config_static_selectorELNS0_4arch9wavefront6targetE0EEEvSP_
    .private_segment_fixed_size: 0
    .sgpr_count:     18
    .sgpr_spill_count: 0
    .symbol:         _ZN7rocprim17ROCPRIM_400000_NS6detail17trampoline_kernelINS0_14default_configENS1_21merge_config_selectorIiNS0_10empty_typeEEEZNS1_10merge_implIS3_N6thrust23THRUST_200600_302600_NS6detail15normal_iteratorINS9_10device_ptrIKiEEEESF_NSB_INSC_IiEEEEPS5_SI_SI_NS9_4lessIiEEEE10hipError_tPvRmT0_T1_T2_T3_T4_T5_mmT6_P12ihipStream_tbEUlT_E_NS1_11comp_targetILNS1_3genE9ELNS1_11target_archE1100ELNS1_3gpuE3ELNS1_3repE0EEENS1_30default_config_static_selectorELNS0_4arch9wavefront6targetE0EEEvSP_.kd
    .uniform_work_group_size: 1
    .uses_dynamic_stack: false
    .vgpr_count:     13
    .vgpr_spill_count: 0
    .wavefront_size: 32
    .workgroup_processor_mode: 1
  - .args:
      - .offset:         0
        .size:           48
        .value_kind:     by_value
    .group_segment_fixed_size: 0
    .kernarg_segment_align: 8
    .kernarg_segment_size: 48
    .language:       OpenCL C
    .language_version:
      - 2
      - 0
    .max_flat_workgroup_size: 1024
    .name:           _ZN7rocprim17ROCPRIM_400000_NS6detail17trampoline_kernelINS0_14default_configENS1_21merge_config_selectorIiNS0_10empty_typeEEEZNS1_10merge_implIS3_N6thrust23THRUST_200600_302600_NS6detail15normal_iteratorINS9_10device_ptrIKiEEEESF_NSB_INSC_IiEEEEPS5_SI_SI_NS9_4lessIiEEEE10hipError_tPvRmT0_T1_T2_T3_T4_T5_mmT6_P12ihipStream_tbEUlT_E_NS1_11comp_targetILNS1_3genE8ELNS1_11target_archE1030ELNS1_3gpuE2ELNS1_3repE0EEENS1_30default_config_static_selectorELNS0_4arch9wavefront6targetE0EEEvSP_
    .private_segment_fixed_size: 0
    .sgpr_count:     0
    .sgpr_spill_count: 0
    .symbol:         _ZN7rocprim17ROCPRIM_400000_NS6detail17trampoline_kernelINS0_14default_configENS1_21merge_config_selectorIiNS0_10empty_typeEEEZNS1_10merge_implIS3_N6thrust23THRUST_200600_302600_NS6detail15normal_iteratorINS9_10device_ptrIKiEEEESF_NSB_INSC_IiEEEEPS5_SI_SI_NS9_4lessIiEEEE10hipError_tPvRmT0_T1_T2_T3_T4_T5_mmT6_P12ihipStream_tbEUlT_E_NS1_11comp_targetILNS1_3genE8ELNS1_11target_archE1030ELNS1_3gpuE2ELNS1_3repE0EEENS1_30default_config_static_selectorELNS0_4arch9wavefront6targetE0EEEvSP_.kd
    .uniform_work_group_size: 1
    .uses_dynamic_stack: false
    .vgpr_count:     0
    .vgpr_spill_count: 0
    .wavefront_size: 32
    .workgroup_processor_mode: 1
  - .args:
      - .offset:         0
        .size:           88
        .value_kind:     by_value
    .group_segment_fixed_size: 0
    .kernarg_segment_align: 8
    .kernarg_segment_size: 88
    .language:       OpenCL C
    .language_version:
      - 2
      - 0
    .max_flat_workgroup_size: 256
    .name:           _ZN7rocprim17ROCPRIM_400000_NS6detail17trampoline_kernelINS0_14default_configENS1_21merge_config_selectorIiNS0_10empty_typeEEEZNS1_10merge_implIS3_N6thrust23THRUST_200600_302600_NS6detail15normal_iteratorINS9_10device_ptrIKiEEEESF_NSB_INSC_IiEEEEPS5_SI_SI_NS9_4lessIiEEEE10hipError_tPvRmT0_T1_T2_T3_T4_T5_mmT6_P12ihipStream_tbEUlT_E0_NS1_11comp_targetILNS1_3genE0ELNS1_11target_archE4294967295ELNS1_3gpuE0ELNS1_3repE0EEENS1_30default_config_static_selectorELNS0_4arch9wavefront6targetE0EEEvSP_
    .private_segment_fixed_size: 0
    .sgpr_count:     0
    .sgpr_spill_count: 0
    .symbol:         _ZN7rocprim17ROCPRIM_400000_NS6detail17trampoline_kernelINS0_14default_configENS1_21merge_config_selectorIiNS0_10empty_typeEEEZNS1_10merge_implIS3_N6thrust23THRUST_200600_302600_NS6detail15normal_iteratorINS9_10device_ptrIKiEEEESF_NSB_INSC_IiEEEEPS5_SI_SI_NS9_4lessIiEEEE10hipError_tPvRmT0_T1_T2_T3_T4_T5_mmT6_P12ihipStream_tbEUlT_E0_NS1_11comp_targetILNS1_3genE0ELNS1_11target_archE4294967295ELNS1_3gpuE0ELNS1_3repE0EEENS1_30default_config_static_selectorELNS0_4arch9wavefront6targetE0EEEvSP_.kd
    .uniform_work_group_size: 1
    .uses_dynamic_stack: false
    .vgpr_count:     0
    .vgpr_spill_count: 0
    .wavefront_size: 32
    .workgroup_processor_mode: 1
  - .args:
      - .offset:         0
        .size:           88
        .value_kind:     by_value
    .group_segment_fixed_size: 0
    .kernarg_segment_align: 8
    .kernarg_segment_size: 88
    .language:       OpenCL C
    .language_version:
      - 2
      - 0
    .max_flat_workgroup_size: 256
    .name:           _ZN7rocprim17ROCPRIM_400000_NS6detail17trampoline_kernelINS0_14default_configENS1_21merge_config_selectorIiNS0_10empty_typeEEEZNS1_10merge_implIS3_N6thrust23THRUST_200600_302600_NS6detail15normal_iteratorINS9_10device_ptrIKiEEEESF_NSB_INSC_IiEEEEPS5_SI_SI_NS9_4lessIiEEEE10hipError_tPvRmT0_T1_T2_T3_T4_T5_mmT6_P12ihipStream_tbEUlT_E0_NS1_11comp_targetILNS1_3genE5ELNS1_11target_archE942ELNS1_3gpuE9ELNS1_3repE0EEENS1_30default_config_static_selectorELNS0_4arch9wavefront6targetE0EEEvSP_
    .private_segment_fixed_size: 0
    .sgpr_count:     0
    .sgpr_spill_count: 0
    .symbol:         _ZN7rocprim17ROCPRIM_400000_NS6detail17trampoline_kernelINS0_14default_configENS1_21merge_config_selectorIiNS0_10empty_typeEEEZNS1_10merge_implIS3_N6thrust23THRUST_200600_302600_NS6detail15normal_iteratorINS9_10device_ptrIKiEEEESF_NSB_INSC_IiEEEEPS5_SI_SI_NS9_4lessIiEEEE10hipError_tPvRmT0_T1_T2_T3_T4_T5_mmT6_P12ihipStream_tbEUlT_E0_NS1_11comp_targetILNS1_3genE5ELNS1_11target_archE942ELNS1_3gpuE9ELNS1_3repE0EEENS1_30default_config_static_selectorELNS0_4arch9wavefront6targetE0EEEvSP_.kd
    .uniform_work_group_size: 1
    .uses_dynamic_stack: false
    .vgpr_count:     0
    .vgpr_spill_count: 0
    .wavefront_size: 32
    .workgroup_processor_mode: 1
  - .args:
      - .offset:         0
        .size:           88
        .value_kind:     by_value
    .group_segment_fixed_size: 0
    .kernarg_segment_align: 8
    .kernarg_segment_size: 88
    .language:       OpenCL C
    .language_version:
      - 2
      - 0
    .max_flat_workgroup_size: 256
    .name:           _ZN7rocprim17ROCPRIM_400000_NS6detail17trampoline_kernelINS0_14default_configENS1_21merge_config_selectorIiNS0_10empty_typeEEEZNS1_10merge_implIS3_N6thrust23THRUST_200600_302600_NS6detail15normal_iteratorINS9_10device_ptrIKiEEEESF_NSB_INSC_IiEEEEPS5_SI_SI_NS9_4lessIiEEEE10hipError_tPvRmT0_T1_T2_T3_T4_T5_mmT6_P12ihipStream_tbEUlT_E0_NS1_11comp_targetILNS1_3genE4ELNS1_11target_archE910ELNS1_3gpuE8ELNS1_3repE0EEENS1_30default_config_static_selectorELNS0_4arch9wavefront6targetE0EEEvSP_
    .private_segment_fixed_size: 0
    .sgpr_count:     0
    .sgpr_spill_count: 0
    .symbol:         _ZN7rocprim17ROCPRIM_400000_NS6detail17trampoline_kernelINS0_14default_configENS1_21merge_config_selectorIiNS0_10empty_typeEEEZNS1_10merge_implIS3_N6thrust23THRUST_200600_302600_NS6detail15normal_iteratorINS9_10device_ptrIKiEEEESF_NSB_INSC_IiEEEEPS5_SI_SI_NS9_4lessIiEEEE10hipError_tPvRmT0_T1_T2_T3_T4_T5_mmT6_P12ihipStream_tbEUlT_E0_NS1_11comp_targetILNS1_3genE4ELNS1_11target_archE910ELNS1_3gpuE8ELNS1_3repE0EEENS1_30default_config_static_selectorELNS0_4arch9wavefront6targetE0EEEvSP_.kd
    .uniform_work_group_size: 1
    .uses_dynamic_stack: false
    .vgpr_count:     0
    .vgpr_spill_count: 0
    .wavefront_size: 32
    .workgroup_processor_mode: 1
  - .args:
      - .offset:         0
        .size:           88
        .value_kind:     by_value
    .group_segment_fixed_size: 0
    .kernarg_segment_align: 8
    .kernarg_segment_size: 88
    .language:       OpenCL C
    .language_version:
      - 2
      - 0
    .max_flat_workgroup_size: 256
    .name:           _ZN7rocprim17ROCPRIM_400000_NS6detail17trampoline_kernelINS0_14default_configENS1_21merge_config_selectorIiNS0_10empty_typeEEEZNS1_10merge_implIS3_N6thrust23THRUST_200600_302600_NS6detail15normal_iteratorINS9_10device_ptrIKiEEEESF_NSB_INSC_IiEEEEPS5_SI_SI_NS9_4lessIiEEEE10hipError_tPvRmT0_T1_T2_T3_T4_T5_mmT6_P12ihipStream_tbEUlT_E0_NS1_11comp_targetILNS1_3genE3ELNS1_11target_archE908ELNS1_3gpuE7ELNS1_3repE0EEENS1_30default_config_static_selectorELNS0_4arch9wavefront6targetE0EEEvSP_
    .private_segment_fixed_size: 0
    .sgpr_count:     0
    .sgpr_spill_count: 0
    .symbol:         _ZN7rocprim17ROCPRIM_400000_NS6detail17trampoline_kernelINS0_14default_configENS1_21merge_config_selectorIiNS0_10empty_typeEEEZNS1_10merge_implIS3_N6thrust23THRUST_200600_302600_NS6detail15normal_iteratorINS9_10device_ptrIKiEEEESF_NSB_INSC_IiEEEEPS5_SI_SI_NS9_4lessIiEEEE10hipError_tPvRmT0_T1_T2_T3_T4_T5_mmT6_P12ihipStream_tbEUlT_E0_NS1_11comp_targetILNS1_3genE3ELNS1_11target_archE908ELNS1_3gpuE7ELNS1_3repE0EEENS1_30default_config_static_selectorELNS0_4arch9wavefront6targetE0EEEvSP_.kd
    .uniform_work_group_size: 1
    .uses_dynamic_stack: false
    .vgpr_count:     0
    .vgpr_spill_count: 0
    .wavefront_size: 32
    .workgroup_processor_mode: 1
  - .args:
      - .offset:         0
        .size:           88
        .value_kind:     by_value
    .group_segment_fixed_size: 0
    .kernarg_segment_align: 8
    .kernarg_segment_size: 88
    .language:       OpenCL C
    .language_version:
      - 2
      - 0
    .max_flat_workgroup_size: 256
    .name:           _ZN7rocprim17ROCPRIM_400000_NS6detail17trampoline_kernelINS0_14default_configENS1_21merge_config_selectorIiNS0_10empty_typeEEEZNS1_10merge_implIS3_N6thrust23THRUST_200600_302600_NS6detail15normal_iteratorINS9_10device_ptrIKiEEEESF_NSB_INSC_IiEEEEPS5_SI_SI_NS9_4lessIiEEEE10hipError_tPvRmT0_T1_T2_T3_T4_T5_mmT6_P12ihipStream_tbEUlT_E0_NS1_11comp_targetILNS1_3genE2ELNS1_11target_archE906ELNS1_3gpuE6ELNS1_3repE0EEENS1_30default_config_static_selectorELNS0_4arch9wavefront6targetE0EEEvSP_
    .private_segment_fixed_size: 0
    .sgpr_count:     0
    .sgpr_spill_count: 0
    .symbol:         _ZN7rocprim17ROCPRIM_400000_NS6detail17trampoline_kernelINS0_14default_configENS1_21merge_config_selectorIiNS0_10empty_typeEEEZNS1_10merge_implIS3_N6thrust23THRUST_200600_302600_NS6detail15normal_iteratorINS9_10device_ptrIKiEEEESF_NSB_INSC_IiEEEEPS5_SI_SI_NS9_4lessIiEEEE10hipError_tPvRmT0_T1_T2_T3_T4_T5_mmT6_P12ihipStream_tbEUlT_E0_NS1_11comp_targetILNS1_3genE2ELNS1_11target_archE906ELNS1_3gpuE6ELNS1_3repE0EEENS1_30default_config_static_selectorELNS0_4arch9wavefront6targetE0EEEvSP_.kd
    .uniform_work_group_size: 1
    .uses_dynamic_stack: false
    .vgpr_count:     0
    .vgpr_spill_count: 0
    .wavefront_size: 32
    .workgroup_processor_mode: 1
  - .args:
      - .offset:         0
        .size:           88
        .value_kind:     by_value
    .group_segment_fixed_size: 0
    .kernarg_segment_align: 8
    .kernarg_segment_size: 88
    .language:       OpenCL C
    .language_version:
      - 2
      - 0
    .max_flat_workgroup_size: 1024
    .name:           _ZN7rocprim17ROCPRIM_400000_NS6detail17trampoline_kernelINS0_14default_configENS1_21merge_config_selectorIiNS0_10empty_typeEEEZNS1_10merge_implIS3_N6thrust23THRUST_200600_302600_NS6detail15normal_iteratorINS9_10device_ptrIKiEEEESF_NSB_INSC_IiEEEEPS5_SI_SI_NS9_4lessIiEEEE10hipError_tPvRmT0_T1_T2_T3_T4_T5_mmT6_P12ihipStream_tbEUlT_E0_NS1_11comp_targetILNS1_3genE10ELNS1_11target_archE1201ELNS1_3gpuE5ELNS1_3repE0EEENS1_30default_config_static_selectorELNS0_4arch9wavefront6targetE0EEEvSP_
    .private_segment_fixed_size: 0
    .sgpr_count:     0
    .sgpr_spill_count: 0
    .symbol:         _ZN7rocprim17ROCPRIM_400000_NS6detail17trampoline_kernelINS0_14default_configENS1_21merge_config_selectorIiNS0_10empty_typeEEEZNS1_10merge_implIS3_N6thrust23THRUST_200600_302600_NS6detail15normal_iteratorINS9_10device_ptrIKiEEEESF_NSB_INSC_IiEEEEPS5_SI_SI_NS9_4lessIiEEEE10hipError_tPvRmT0_T1_T2_T3_T4_T5_mmT6_P12ihipStream_tbEUlT_E0_NS1_11comp_targetILNS1_3genE10ELNS1_11target_archE1201ELNS1_3gpuE5ELNS1_3repE0EEENS1_30default_config_static_selectorELNS0_4arch9wavefront6targetE0EEEvSP_.kd
    .uniform_work_group_size: 1
    .uses_dynamic_stack: false
    .vgpr_count:     0
    .vgpr_spill_count: 0
    .wavefront_size: 32
    .workgroup_processor_mode: 1
  - .args:
      - .offset:         0
        .size:           88
        .value_kind:     by_value
    .group_segment_fixed_size: 0
    .kernarg_segment_align: 8
    .kernarg_segment_size: 88
    .language:       OpenCL C
    .language_version:
      - 2
      - 0
    .max_flat_workgroup_size: 1024
    .name:           _ZN7rocprim17ROCPRIM_400000_NS6detail17trampoline_kernelINS0_14default_configENS1_21merge_config_selectorIiNS0_10empty_typeEEEZNS1_10merge_implIS3_N6thrust23THRUST_200600_302600_NS6detail15normal_iteratorINS9_10device_ptrIKiEEEESF_NSB_INSC_IiEEEEPS5_SI_SI_NS9_4lessIiEEEE10hipError_tPvRmT0_T1_T2_T3_T4_T5_mmT6_P12ihipStream_tbEUlT_E0_NS1_11comp_targetILNS1_3genE10ELNS1_11target_archE1200ELNS1_3gpuE4ELNS1_3repE0EEENS1_30default_config_static_selectorELNS0_4arch9wavefront6targetE0EEEvSP_
    .private_segment_fixed_size: 0
    .sgpr_count:     0
    .sgpr_spill_count: 0
    .symbol:         _ZN7rocprim17ROCPRIM_400000_NS6detail17trampoline_kernelINS0_14default_configENS1_21merge_config_selectorIiNS0_10empty_typeEEEZNS1_10merge_implIS3_N6thrust23THRUST_200600_302600_NS6detail15normal_iteratorINS9_10device_ptrIKiEEEESF_NSB_INSC_IiEEEEPS5_SI_SI_NS9_4lessIiEEEE10hipError_tPvRmT0_T1_T2_T3_T4_T5_mmT6_P12ihipStream_tbEUlT_E0_NS1_11comp_targetILNS1_3genE10ELNS1_11target_archE1200ELNS1_3gpuE4ELNS1_3repE0EEENS1_30default_config_static_selectorELNS0_4arch9wavefront6targetE0EEEvSP_.kd
    .uniform_work_group_size: 1
    .uses_dynamic_stack: false
    .vgpr_count:     0
    .vgpr_spill_count: 0
    .wavefront_size: 32
    .workgroup_processor_mode: 1
  - .args:
      - .offset:         0
        .size:           88
        .value_kind:     by_value
    .group_segment_fixed_size: 33792
    .kernarg_segment_align: 8
    .kernarg_segment_size: 88
    .language:       OpenCL C
    .language_version:
      - 2
      - 0
    .max_flat_workgroup_size: 1024
    .name:           _ZN7rocprim17ROCPRIM_400000_NS6detail17trampoline_kernelINS0_14default_configENS1_21merge_config_selectorIiNS0_10empty_typeEEEZNS1_10merge_implIS3_N6thrust23THRUST_200600_302600_NS6detail15normal_iteratorINS9_10device_ptrIKiEEEESF_NSB_INSC_IiEEEEPS5_SI_SI_NS9_4lessIiEEEE10hipError_tPvRmT0_T1_T2_T3_T4_T5_mmT6_P12ihipStream_tbEUlT_E0_NS1_11comp_targetILNS1_3genE9ELNS1_11target_archE1100ELNS1_3gpuE3ELNS1_3repE0EEENS1_30default_config_static_selectorELNS0_4arch9wavefront6targetE0EEEvSP_
    .private_segment_fixed_size: 0
    .sgpr_count:     22
    .sgpr_spill_count: 0
    .symbol:         _ZN7rocprim17ROCPRIM_400000_NS6detail17trampoline_kernelINS0_14default_configENS1_21merge_config_selectorIiNS0_10empty_typeEEEZNS1_10merge_implIS3_N6thrust23THRUST_200600_302600_NS6detail15normal_iteratorINS9_10device_ptrIKiEEEESF_NSB_INSC_IiEEEEPS5_SI_SI_NS9_4lessIiEEEE10hipError_tPvRmT0_T1_T2_T3_T4_T5_mmT6_P12ihipStream_tbEUlT_E0_NS1_11comp_targetILNS1_3genE9ELNS1_11target_archE1100ELNS1_3gpuE3ELNS1_3repE0EEENS1_30default_config_static_selectorELNS0_4arch9wavefront6targetE0EEEvSP_.kd
    .uniform_work_group_size: 1
    .uses_dynamic_stack: false
    .vgpr_count:     31
    .vgpr_spill_count: 0
    .wavefront_size: 32
    .workgroup_processor_mode: 1
  - .args:
      - .offset:         0
        .size:           88
        .value_kind:     by_value
    .group_segment_fixed_size: 0
    .kernarg_segment_align: 8
    .kernarg_segment_size: 88
    .language:       OpenCL C
    .language_version:
      - 2
      - 0
    .max_flat_workgroup_size: 1024
    .name:           _ZN7rocprim17ROCPRIM_400000_NS6detail17trampoline_kernelINS0_14default_configENS1_21merge_config_selectorIiNS0_10empty_typeEEEZNS1_10merge_implIS3_N6thrust23THRUST_200600_302600_NS6detail15normal_iteratorINS9_10device_ptrIKiEEEESF_NSB_INSC_IiEEEEPS5_SI_SI_NS9_4lessIiEEEE10hipError_tPvRmT0_T1_T2_T3_T4_T5_mmT6_P12ihipStream_tbEUlT_E0_NS1_11comp_targetILNS1_3genE8ELNS1_11target_archE1030ELNS1_3gpuE2ELNS1_3repE0EEENS1_30default_config_static_selectorELNS0_4arch9wavefront6targetE0EEEvSP_
    .private_segment_fixed_size: 0
    .sgpr_count:     0
    .sgpr_spill_count: 0
    .symbol:         _ZN7rocprim17ROCPRIM_400000_NS6detail17trampoline_kernelINS0_14default_configENS1_21merge_config_selectorIiNS0_10empty_typeEEEZNS1_10merge_implIS3_N6thrust23THRUST_200600_302600_NS6detail15normal_iteratorINS9_10device_ptrIKiEEEESF_NSB_INSC_IiEEEEPS5_SI_SI_NS9_4lessIiEEEE10hipError_tPvRmT0_T1_T2_T3_T4_T5_mmT6_P12ihipStream_tbEUlT_E0_NS1_11comp_targetILNS1_3genE8ELNS1_11target_archE1030ELNS1_3gpuE2ELNS1_3repE0EEENS1_30default_config_static_selectorELNS0_4arch9wavefront6targetE0EEEvSP_.kd
    .uniform_work_group_size: 1
    .uses_dynamic_stack: false
    .vgpr_count:     0
    .vgpr_spill_count: 0
    .wavefront_size: 32
    .workgroup_processor_mode: 1
  - .args:
      - .address_space:  global
        .offset:         0
        .size:           8
        .value_kind:     global_buffer
      - .offset:         8
        .size:           4
        .value_kind:     by_value
      - .address_space:  global
        .offset:         16
        .size:           8
        .value_kind:     global_buffer
      - .offset:         24
        .size:           4
        .value_kind:     by_value
      - .address_space:  global
        .offset:         32
        .size:           8
        .value_kind:     global_buffer
      - .offset:         40
        .size:           4
        .value_kind:     hidden_block_count_x
      - .offset:         44
        .size:           4
        .value_kind:     hidden_block_count_y
      - .offset:         48
        .size:           4
        .value_kind:     hidden_block_count_z
      - .offset:         52
        .size:           2
        .value_kind:     hidden_group_size_x
      - .offset:         54
        .size:           2
        .value_kind:     hidden_group_size_y
      - .offset:         56
        .size:           2
        .value_kind:     hidden_group_size_z
      - .offset:         58
        .size:           2
        .value_kind:     hidden_remainder_x
      - .offset:         60
        .size:           2
        .value_kind:     hidden_remainder_y
      - .offset:         62
        .size:           2
        .value_kind:     hidden_remainder_z
      - .offset:         80
        .size:           8
        .value_kind:     hidden_global_offset_x
      - .offset:         88
        .size:           8
        .value_kind:     hidden_global_offset_y
      - .offset:         96
        .size:           8
        .value_kind:     hidden_global_offset_z
      - .offset:         104
        .size:           2
        .value_kind:     hidden_grid_dims
    .group_segment_fixed_size: 0
    .kernarg_segment_align: 8
    .kernarg_segment_size: 296
    .language:       OpenCL C
    .language_version:
      - 2
      - 0
    .max_flat_workgroup_size: 256
    .name:           _ZN7rocprim17ROCPRIM_400000_NS6detail31init_lookback_scan_state_kernelINS1_19lookback_scan_stateIlLb0ELb1EEENS1_16ordered_block_idIjEEEEvT_jT0_jPNS7_10value_typeE
    .private_segment_fixed_size: 0
    .sgpr_count:     18
    .sgpr_spill_count: 0
    .symbol:         _ZN7rocprim17ROCPRIM_400000_NS6detail31init_lookback_scan_state_kernelINS1_19lookback_scan_stateIlLb0ELb1EEENS1_16ordered_block_idIjEEEEvT_jT0_jPNS7_10value_typeE.kd
    .uniform_work_group_size: 1
    .uses_dynamic_stack: false
    .vgpr_count:     9
    .vgpr_spill_count: 0
    .wavefront_size: 32
    .workgroup_processor_mode: 1
  - .args:
      - .offset:         0
        .size:           48
        .value_kind:     by_value
      - .offset:         48
        .size:           4
        .value_kind:     by_value
      - .offset:         52
        .size:           4
        .value_kind:     by_value
    .group_segment_fixed_size: 0
    .kernarg_segment_align: 8
    .kernarg_segment_size: 56
    .language:       OpenCL C
    .language_version:
      - 2
      - 0
    .max_flat_workgroup_size: 256
    .name:           _ZN6thrust23THRUST_200600_302600_NS11hip_rocprim14__parallel_for6kernelILj256EZNS1_16__set_operations9doit_stepILb0ENS0_6detail15normal_iteratorINS0_10device_ptrIKiEEEESB_PiSC_lNS7_INS8_IiEEEESC_NS0_4lessIiEENS4_16serial_set_unionEEE10hipError_tPvRmT0_T1_T2_T3_T4_SP_T5_T6_PSP_T7_T8_P12ihipStream_tbEUllE_jLj1EEEvSL_SM_SM_
    .private_segment_fixed_size: 0
    .sgpr_count:     18
    .sgpr_spill_count: 0
    .symbol:         _ZN6thrust23THRUST_200600_302600_NS11hip_rocprim14__parallel_for6kernelILj256EZNS1_16__set_operations9doit_stepILb0ENS0_6detail15normal_iteratorINS0_10device_ptrIKiEEEESB_PiSC_lNS7_INS8_IiEEEESC_NS0_4lessIiEENS4_16serial_set_unionEEE10hipError_tPvRmT0_T1_T2_T3_T4_SP_T5_T6_PSP_T7_T8_P12ihipStream_tbEUllE_jLj1EEEvSL_SM_SM_.kd
    .uniform_work_group_size: 1
    .uses_dynamic_stack: false
    .vgpr_count:     25
    .vgpr_spill_count: 0
    .wavefront_size: 32
    .workgroup_processor_mode: 1
  - .args:
      - .address_space:  global
        .offset:         0
        .size:           8
        .value_kind:     global_buffer
      - .address_space:  global
        .offset:         8
        .size:           8
        .value_kind:     global_buffer
      - .address_space:  global
        .offset:         16
        .size:           8
        .value_kind:     global_buffer
      - .address_space:  global
        .offset:         24
        .size:           8
        .value_kind:     global_buffer
      - .address_space:  global
        .offset:         32
        .size:           8
        .value_kind:     global_buffer
      - .address_space:  global
        .offset:         40
        .size:           8
        .value_kind:     global_buffer
      - .offset:         48
        .size:           1
        .value_kind:     by_value
      - .offset:         49
        .size:           1
        .value_kind:     by_value
      - .address_space:  global
        .offset:         56
        .size:           8
        .value_kind:     global_buffer
      - .address_space:  global
        .offset:         64
        .size:           8
        .value_kind:     global_buffer
      - .address_space:  global
        .offset:         72
        .size:           8
        .value_kind:     global_buffer
      - .address_space:  global
        .offset:         80
        .size:           8
        .value_kind:     global_buffer
      - .offset:         88
        .size:           4
        .value_kind:     hidden_block_count_x
      - .offset:         92
        .size:           4
        .value_kind:     hidden_block_count_y
      - .offset:         96
        .size:           4
        .value_kind:     hidden_block_count_z
      - .offset:         100
        .size:           2
        .value_kind:     hidden_group_size_x
      - .offset:         102
        .size:           2
        .value_kind:     hidden_group_size_y
      - .offset:         104
        .size:           2
        .value_kind:     hidden_group_size_z
      - .offset:         106
        .size:           2
        .value_kind:     hidden_remainder_x
      - .offset:         108
        .size:           2
        .value_kind:     hidden_remainder_y
      - .offset:         110
        .size:           2
        .value_kind:     hidden_remainder_z
      - .offset:         128
        .size:           8
        .value_kind:     hidden_global_offset_x
      - .offset:         136
        .size:           8
        .value_kind:     hidden_global_offset_y
      - .offset:         144
        .size:           8
        .value_kind:     hidden_global_offset_z
      - .offset:         152
        .size:           2
        .value_kind:     hidden_grid_dims
    .group_segment_fixed_size: 36868
    .kernarg_segment_align: 8
    .kernarg_segment_size: 344
    .language:       OpenCL C
    .language_version:
      - 2
      - 0
    .max_flat_workgroup_size: 256
    .name:           _ZN6thrust23THRUST_200600_302600_NS11hip_rocprim16__set_operations22lookback_set_op_kernelIN7rocprim17ROCPRIM_400000_NS13kernel_configILj256ELj16ELj4294967295EEELb0ENS0_6detail15normal_iteratorINS0_10device_ptrIKiEEEESD_PiSE_lNS9_INSA_IiEEEESE_NS0_4lessIiEENS2_16serial_set_unionENS5_6detail19lookback_scan_stateIlLb0ELb1EEEEEvT1_T2_T3_T4_T6_T7_T8_T9_PNS0_4pairIT5_SW_EEPSW_T10_NSK_16ordered_block_idIjEE
    .private_segment_fixed_size: 0
    .sgpr_count:     38
    .sgpr_spill_count: 0
    .symbol:         _ZN6thrust23THRUST_200600_302600_NS11hip_rocprim16__set_operations22lookback_set_op_kernelIN7rocprim17ROCPRIM_400000_NS13kernel_configILj256ELj16ELj4294967295EEELb0ENS0_6detail15normal_iteratorINS0_10device_ptrIKiEEEESD_PiSE_lNS9_INSA_IiEEEESE_NS0_4lessIiEENS2_16serial_set_unionENS5_6detail19lookback_scan_stateIlLb0ELb1EEEEEvT1_T2_T3_T4_T6_T7_T8_T9_PNS0_4pairIT5_SW_EEPSW_T10_NSK_16ordered_block_idIjEE.kd
    .uniform_work_group_size: 1
    .uses_dynamic_stack: false
    .vgpr_count:     78
    .vgpr_spill_count: 0
    .wavefront_size: 32
    .workgroup_processor_mode: 1
  - .args:
      - .offset:         0
        .size:           48
        .value_kind:     by_value
      - .offset:         48
        .size:           4
        .value_kind:     by_value
      - .offset:         52
        .size:           4
        .value_kind:     by_value
    .group_segment_fixed_size: 0
    .kernarg_segment_align: 8
    .kernarg_segment_size: 56
    .language:       OpenCL C
    .language_version:
      - 2
      - 0
    .max_flat_workgroup_size: 256
    .name:           _ZN6thrust23THRUST_200600_302600_NS11hip_rocprim14__parallel_for6kernelILj256EZNS1_16__set_operations9doit_stepILb0ENS0_6detail15normal_iteratorINS0_10device_ptrIKiEEEESB_PiSC_lNS7_INS8_IiEEEESC_NS0_4lessIiEENS4_23serial_set_intersectionEEE10hipError_tPvRmT0_T1_T2_T3_T4_SP_T5_T6_PSP_T7_T8_P12ihipStream_tbEUllE_jLj1EEEvSL_SM_SM_
    .private_segment_fixed_size: 0
    .sgpr_count:     18
    .sgpr_spill_count: 0
    .symbol:         _ZN6thrust23THRUST_200600_302600_NS11hip_rocprim14__parallel_for6kernelILj256EZNS1_16__set_operations9doit_stepILb0ENS0_6detail15normal_iteratorINS0_10device_ptrIKiEEEESB_PiSC_lNS7_INS8_IiEEEESC_NS0_4lessIiEENS4_23serial_set_intersectionEEE10hipError_tPvRmT0_T1_T2_T3_T4_SP_T5_T6_PSP_T7_T8_P12ihipStream_tbEUllE_jLj1EEEvSL_SM_SM_.kd
    .uniform_work_group_size: 1
    .uses_dynamic_stack: false
    .vgpr_count:     25
    .vgpr_spill_count: 0
    .wavefront_size: 32
    .workgroup_processor_mode: 1
  - .args:
      - .address_space:  global
        .offset:         0
        .size:           8
        .value_kind:     global_buffer
      - .address_space:  global
        .offset:         8
        .size:           8
        .value_kind:     global_buffer
      - .address_space:  global
        .offset:         16
        .size:           8
        .value_kind:     global_buffer
      - .address_space:  global
        .offset:         24
        .size:           8
        .value_kind:     global_buffer
      - .address_space:  global
        .offset:         32
        .size:           8
        .value_kind:     global_buffer
      - .address_space:  global
        .offset:         40
        .size:           8
        .value_kind:     global_buffer
      - .offset:         48
        .size:           1
        .value_kind:     by_value
      - .offset:         49
        .size:           1
        .value_kind:     by_value
      - .address_space:  global
        .offset:         56
        .size:           8
        .value_kind:     global_buffer
      - .address_space:  global
        .offset:         64
        .size:           8
        .value_kind:     global_buffer
      - .address_space:  global
        .offset:         72
        .size:           8
        .value_kind:     global_buffer
      - .address_space:  global
        .offset:         80
        .size:           8
        .value_kind:     global_buffer
      - .offset:         88
        .size:           4
        .value_kind:     hidden_block_count_x
      - .offset:         92
        .size:           4
        .value_kind:     hidden_block_count_y
      - .offset:         96
        .size:           4
        .value_kind:     hidden_block_count_z
      - .offset:         100
        .size:           2
        .value_kind:     hidden_group_size_x
      - .offset:         102
        .size:           2
        .value_kind:     hidden_group_size_y
      - .offset:         104
        .size:           2
        .value_kind:     hidden_group_size_z
      - .offset:         106
        .size:           2
        .value_kind:     hidden_remainder_x
      - .offset:         108
        .size:           2
        .value_kind:     hidden_remainder_y
      - .offset:         110
        .size:           2
        .value_kind:     hidden_remainder_z
      - .offset:         128
        .size:           8
        .value_kind:     hidden_global_offset_x
      - .offset:         136
        .size:           8
        .value_kind:     hidden_global_offset_y
      - .offset:         144
        .size:           8
        .value_kind:     hidden_global_offset_z
      - .offset:         152
        .size:           2
        .value_kind:     hidden_grid_dims
    .group_segment_fixed_size: 36868
    .kernarg_segment_align: 8
    .kernarg_segment_size: 344
    .language:       OpenCL C
    .language_version:
      - 2
      - 0
    .max_flat_workgroup_size: 256
    .name:           _ZN6thrust23THRUST_200600_302600_NS11hip_rocprim16__set_operations22lookback_set_op_kernelIN7rocprim17ROCPRIM_400000_NS13kernel_configILj256ELj16ELj4294967295EEELb0ENS0_6detail15normal_iteratorINS0_10device_ptrIKiEEEESD_PiSE_lNS9_INSA_IiEEEESE_NS0_4lessIiEENS2_23serial_set_intersectionENS5_6detail19lookback_scan_stateIlLb0ELb1EEEEEvT1_T2_T3_T4_T6_T7_T8_T9_PNS0_4pairIT5_SW_EEPSW_T10_NSK_16ordered_block_idIjEE
    .private_segment_fixed_size: 0
    .sgpr_count:     46
    .sgpr_spill_count: 0
    .symbol:         _ZN6thrust23THRUST_200600_302600_NS11hip_rocprim16__set_operations22lookback_set_op_kernelIN7rocprim17ROCPRIM_400000_NS13kernel_configILj256ELj16ELj4294967295EEELb0ENS0_6detail15normal_iteratorINS0_10device_ptrIKiEEEESD_PiSE_lNS9_INSA_IiEEEESE_NS0_4lessIiEENS2_23serial_set_intersectionENS5_6detail19lookback_scan_stateIlLb0ELb1EEEEEvT1_T2_T3_T4_T6_T7_T8_T9_PNS0_4pairIT5_SW_EEPSW_T10_NSK_16ordered_block_idIjEE.kd
    .uniform_work_group_size: 1
    .uses_dynamic_stack: false
    .vgpr_count:     74
    .vgpr_spill_count: 0
    .wavefront_size: 32
    .workgroup_processor_mode: 1
  - .args:
      - .offset:         0
        .size:           48
        .value_kind:     by_value
      - .offset:         48
        .size:           4
        .value_kind:     by_value
      - .offset:         52
        .size:           4
        .value_kind:     by_value
    .group_segment_fixed_size: 0
    .kernarg_segment_align: 8
    .kernarg_segment_size: 56
    .language:       OpenCL C
    .language_version:
      - 2
      - 0
    .max_flat_workgroup_size: 256
    .name:           _ZN6thrust23THRUST_200600_302600_NS11hip_rocprim14__parallel_for6kernelILj256EZNS1_16__set_operations9doit_stepILb0ENS0_6detail15normal_iteratorINS0_10device_ptrIKiEEEESB_PiSC_lNS7_INS8_IiEEEESC_NS0_4lessIiEENS4_21serial_set_differenceEEE10hipError_tPvRmT0_T1_T2_T3_T4_SP_T5_T6_PSP_T7_T8_P12ihipStream_tbEUllE_jLj1EEEvSL_SM_SM_
    .private_segment_fixed_size: 0
    .sgpr_count:     18
    .sgpr_spill_count: 0
    .symbol:         _ZN6thrust23THRUST_200600_302600_NS11hip_rocprim14__parallel_for6kernelILj256EZNS1_16__set_operations9doit_stepILb0ENS0_6detail15normal_iteratorINS0_10device_ptrIKiEEEESB_PiSC_lNS7_INS8_IiEEEESC_NS0_4lessIiEENS4_21serial_set_differenceEEE10hipError_tPvRmT0_T1_T2_T3_T4_SP_T5_T6_PSP_T7_T8_P12ihipStream_tbEUllE_jLj1EEEvSL_SM_SM_.kd
    .uniform_work_group_size: 1
    .uses_dynamic_stack: false
    .vgpr_count:     25
    .vgpr_spill_count: 0
    .wavefront_size: 32
    .workgroup_processor_mode: 1
  - .args:
      - .address_space:  global
        .offset:         0
        .size:           8
        .value_kind:     global_buffer
      - .address_space:  global
        .offset:         8
        .size:           8
        .value_kind:     global_buffer
      - .address_space:  global
        .offset:         16
        .size:           8
        .value_kind:     global_buffer
      - .address_space:  global
        .offset:         24
        .size:           8
        .value_kind:     global_buffer
      - .address_space:  global
        .offset:         32
        .size:           8
        .value_kind:     global_buffer
      - .address_space:  global
        .offset:         40
        .size:           8
        .value_kind:     global_buffer
      - .offset:         48
        .size:           1
        .value_kind:     by_value
      - .offset:         49
        .size:           1
        .value_kind:     by_value
      - .address_space:  global
        .offset:         56
        .size:           8
        .value_kind:     global_buffer
      - .address_space:  global
        .offset:         64
        .size:           8
        .value_kind:     global_buffer
      - .address_space:  global
        .offset:         72
        .size:           8
        .value_kind:     global_buffer
      - .address_space:  global
        .offset:         80
        .size:           8
        .value_kind:     global_buffer
      - .offset:         88
        .size:           4
        .value_kind:     hidden_block_count_x
      - .offset:         92
        .size:           4
        .value_kind:     hidden_block_count_y
      - .offset:         96
        .size:           4
        .value_kind:     hidden_block_count_z
      - .offset:         100
        .size:           2
        .value_kind:     hidden_group_size_x
      - .offset:         102
        .size:           2
        .value_kind:     hidden_group_size_y
      - .offset:         104
        .size:           2
        .value_kind:     hidden_group_size_z
      - .offset:         106
        .size:           2
        .value_kind:     hidden_remainder_x
      - .offset:         108
        .size:           2
        .value_kind:     hidden_remainder_y
      - .offset:         110
        .size:           2
        .value_kind:     hidden_remainder_z
      - .offset:         128
        .size:           8
        .value_kind:     hidden_global_offset_x
      - .offset:         136
        .size:           8
        .value_kind:     hidden_global_offset_y
      - .offset:         144
        .size:           8
        .value_kind:     hidden_global_offset_z
      - .offset:         152
        .size:           2
        .value_kind:     hidden_grid_dims
    .group_segment_fixed_size: 36868
    .kernarg_segment_align: 8
    .kernarg_segment_size: 344
    .language:       OpenCL C
    .language_version:
      - 2
      - 0
    .max_flat_workgroup_size: 256
    .name:           _ZN6thrust23THRUST_200600_302600_NS11hip_rocprim16__set_operations22lookback_set_op_kernelIN7rocprim17ROCPRIM_400000_NS13kernel_configILj256ELj16ELj4294967295EEELb0ENS0_6detail15normal_iteratorINS0_10device_ptrIKiEEEESD_PiSE_lNS9_INSA_IiEEEESE_NS0_4lessIiEENS2_21serial_set_differenceENS5_6detail19lookback_scan_stateIlLb0ELb1EEEEEvT1_T2_T3_T4_T6_T7_T8_T9_PNS0_4pairIT5_SW_EEPSW_T10_NSK_16ordered_block_idIjEE
    .private_segment_fixed_size: 0
    .sgpr_count:     41
    .sgpr_spill_count: 0
    .symbol:         _ZN6thrust23THRUST_200600_302600_NS11hip_rocprim16__set_operations22lookback_set_op_kernelIN7rocprim17ROCPRIM_400000_NS13kernel_configILj256ELj16ELj4294967295EEELb0ENS0_6detail15normal_iteratorINS0_10device_ptrIKiEEEESD_PiSE_lNS9_INSA_IiEEEESE_NS0_4lessIiEENS2_21serial_set_differenceENS5_6detail19lookback_scan_stateIlLb0ELb1EEEEEvT1_T2_T3_T4_T6_T7_T8_T9_PNS0_4pairIT5_SW_EEPSW_T10_NSK_16ordered_block_idIjEE.kd
    .uniform_work_group_size: 1
    .uses_dynamic_stack: false
    .vgpr_count:     58
    .vgpr_spill_count: 0
    .wavefront_size: 32
    .workgroup_processor_mode: 1
  - .args:
      - .offset:         0
        .size:           48
        .value_kind:     by_value
      - .offset:         48
        .size:           4
        .value_kind:     by_value
      - .offset:         52
        .size:           4
        .value_kind:     by_value
    .group_segment_fixed_size: 0
    .kernarg_segment_align: 8
    .kernarg_segment_size: 56
    .language:       OpenCL C
    .language_version:
      - 2
      - 0
    .max_flat_workgroup_size: 256
    .name:           _ZN6thrust23THRUST_200600_302600_NS11hip_rocprim14__parallel_for6kernelILj256EZNS1_16__set_operations9doit_stepILb0ENS0_6detail15normal_iteratorINS0_10device_ptrIKiEEEESB_PiSC_lNS7_INS8_IiEEEESC_NS0_4lessIiEENS4_31serial_set_symmetric_differenceEEE10hipError_tPvRmT0_T1_T2_T3_T4_SP_T5_T6_PSP_T7_T8_P12ihipStream_tbEUllE_jLj1EEEvSL_SM_SM_
    .private_segment_fixed_size: 0
    .sgpr_count:     18
    .sgpr_spill_count: 0
    .symbol:         _ZN6thrust23THRUST_200600_302600_NS11hip_rocprim14__parallel_for6kernelILj256EZNS1_16__set_operations9doit_stepILb0ENS0_6detail15normal_iteratorINS0_10device_ptrIKiEEEESB_PiSC_lNS7_INS8_IiEEEESC_NS0_4lessIiEENS4_31serial_set_symmetric_differenceEEE10hipError_tPvRmT0_T1_T2_T3_T4_SP_T5_T6_PSP_T7_T8_P12ihipStream_tbEUllE_jLj1EEEvSL_SM_SM_.kd
    .uniform_work_group_size: 1
    .uses_dynamic_stack: false
    .vgpr_count:     25
    .vgpr_spill_count: 0
    .wavefront_size: 32
    .workgroup_processor_mode: 1
  - .args:
      - .address_space:  global
        .offset:         0
        .size:           8
        .value_kind:     global_buffer
      - .address_space:  global
        .offset:         8
        .size:           8
        .value_kind:     global_buffer
      - .address_space:  global
        .offset:         16
        .size:           8
        .value_kind:     global_buffer
      - .address_space:  global
        .offset:         24
        .size:           8
        .value_kind:     global_buffer
      - .address_space:  global
        .offset:         32
        .size:           8
        .value_kind:     global_buffer
      - .address_space:  global
        .offset:         40
        .size:           8
        .value_kind:     global_buffer
      - .offset:         48
        .size:           1
        .value_kind:     by_value
      - .offset:         49
        .size:           1
        .value_kind:     by_value
      - .address_space:  global
        .offset:         56
        .size:           8
        .value_kind:     global_buffer
      - .address_space:  global
        .offset:         64
        .size:           8
        .value_kind:     global_buffer
      - .address_space:  global
        .offset:         72
        .size:           8
        .value_kind:     global_buffer
      - .address_space:  global
        .offset:         80
        .size:           8
        .value_kind:     global_buffer
      - .offset:         88
        .size:           4
        .value_kind:     hidden_block_count_x
      - .offset:         92
        .size:           4
        .value_kind:     hidden_block_count_y
      - .offset:         96
        .size:           4
        .value_kind:     hidden_block_count_z
      - .offset:         100
        .size:           2
        .value_kind:     hidden_group_size_x
      - .offset:         102
        .size:           2
        .value_kind:     hidden_group_size_y
      - .offset:         104
        .size:           2
        .value_kind:     hidden_group_size_z
      - .offset:         106
        .size:           2
        .value_kind:     hidden_remainder_x
      - .offset:         108
        .size:           2
        .value_kind:     hidden_remainder_y
      - .offset:         110
        .size:           2
        .value_kind:     hidden_remainder_z
      - .offset:         128
        .size:           8
        .value_kind:     hidden_global_offset_x
      - .offset:         136
        .size:           8
        .value_kind:     hidden_global_offset_y
      - .offset:         144
        .size:           8
        .value_kind:     hidden_global_offset_z
      - .offset:         152
        .size:           2
        .value_kind:     hidden_grid_dims
    .group_segment_fixed_size: 36868
    .kernarg_segment_align: 8
    .kernarg_segment_size: 344
    .language:       OpenCL C
    .language_version:
      - 2
      - 0
    .max_flat_workgroup_size: 256
    .name:           _ZN6thrust23THRUST_200600_302600_NS11hip_rocprim16__set_operations22lookback_set_op_kernelIN7rocprim17ROCPRIM_400000_NS13kernel_configILj256ELj16ELj4294967295EEELb0ENS0_6detail15normal_iteratorINS0_10device_ptrIKiEEEESD_PiSE_lNS9_INSA_IiEEEESE_NS0_4lessIiEENS2_31serial_set_symmetric_differenceENS5_6detail19lookback_scan_stateIlLb0ELb1EEEEEvT1_T2_T3_T4_T6_T7_T8_T9_PNS0_4pairIT5_SW_EEPSW_T10_NSK_16ordered_block_idIjEE
    .private_segment_fixed_size: 0
    .sgpr_count:     60
    .sgpr_spill_count: 0
    .symbol:         _ZN6thrust23THRUST_200600_302600_NS11hip_rocprim16__set_operations22lookback_set_op_kernelIN7rocprim17ROCPRIM_400000_NS13kernel_configILj256ELj16ELj4294967295EEELb0ENS0_6detail15normal_iteratorINS0_10device_ptrIKiEEEESD_PiSE_lNS9_INSA_IiEEEESE_NS0_4lessIiEENS2_31serial_set_symmetric_differenceENS5_6detail19lookback_scan_stateIlLb0ELb1EEEEEvT1_T2_T3_T4_T6_T7_T8_T9_PNS0_4pairIT5_SW_EEPSW_T10_NSK_16ordered_block_idIjEE.kd
    .uniform_work_group_size: 1
    .uses_dynamic_stack: false
    .vgpr_count:     74
    .vgpr_spill_count: 0
    .wavefront_size: 32
    .workgroup_processor_mode: 1
  - .args:
      - .offset:         0
        .size:           48
        .value_kind:     by_value
      - .offset:         48
        .size:           4
        .value_kind:     by_value
      - .offset:         52
        .size:           4
        .value_kind:     by_value
    .group_segment_fixed_size: 0
    .kernarg_segment_align: 8
    .kernarg_segment_size: 56
    .language:       OpenCL C
    .language_version:
      - 2
      - 0
    .max_flat_workgroup_size: 256
    .name:           _ZN6thrust23THRUST_200600_302600_NS11hip_rocprim14__parallel_for6kernelILj256EZNS1_16__set_operations9doit_stepILb0ENS0_6detail15normal_iteratorINS0_10device_ptrIKiEEEESB_PiSC_lNS0_16discard_iteratorINS0_11use_defaultEEESC_NS0_4lessIiEENS4_23serial_set_intersectionEEE10hipError_tPvRmT0_T1_T2_T3_T4_SQ_T5_T6_PSQ_T7_T8_P12ihipStream_tbEUllE_jLj1EEEvSM_SN_SN_
    .private_segment_fixed_size: 0
    .sgpr_count:     18
    .sgpr_spill_count: 0
    .symbol:         _ZN6thrust23THRUST_200600_302600_NS11hip_rocprim14__parallel_for6kernelILj256EZNS1_16__set_operations9doit_stepILb0ENS0_6detail15normal_iteratorINS0_10device_ptrIKiEEEESB_PiSC_lNS0_16discard_iteratorINS0_11use_defaultEEESC_NS0_4lessIiEENS4_23serial_set_intersectionEEE10hipError_tPvRmT0_T1_T2_T3_T4_SQ_T5_T6_PSQ_T7_T8_P12ihipStream_tbEUllE_jLj1EEEvSM_SN_SN_.kd
    .uniform_work_group_size: 1
    .uses_dynamic_stack: false
    .vgpr_count:     25
    .vgpr_spill_count: 0
    .wavefront_size: 32
    .workgroup_processor_mode: 1
  - .args:
      - .address_space:  global
        .offset:         0
        .size:           8
        .value_kind:     global_buffer
      - .address_space:  global
        .offset:         8
        .size:           8
        .value_kind:     global_buffer
      - .address_space:  global
        .offset:         16
        .size:           8
        .value_kind:     global_buffer
      - .address_space:  global
        .offset:         24
        .size:           8
        .value_kind:     global_buffer
      - .offset:         32
        .size:           16
        .value_kind:     by_value
      - .address_space:  global
        .offset:         48
        .size:           8
        .value_kind:     global_buffer
      - .offset:         56
        .size:           1
        .value_kind:     by_value
      - .offset:         57
        .size:           1
        .value_kind:     by_value
      - .address_space:  global
        .offset:         64
        .size:           8
        .value_kind:     global_buffer
      - .address_space:  global
        .offset:         72
        .size:           8
        .value_kind:     global_buffer
      - .address_space:  global
        .offset:         80
        .size:           8
        .value_kind:     global_buffer
      - .address_space:  global
        .offset:         88
        .size:           8
        .value_kind:     global_buffer
      - .offset:         96
        .size:           4
        .value_kind:     hidden_block_count_x
      - .offset:         100
        .size:           4
        .value_kind:     hidden_block_count_y
      - .offset:         104
        .size:           4
        .value_kind:     hidden_block_count_z
      - .offset:         108
        .size:           2
        .value_kind:     hidden_group_size_x
      - .offset:         110
        .size:           2
        .value_kind:     hidden_group_size_y
      - .offset:         112
        .size:           2
        .value_kind:     hidden_group_size_z
      - .offset:         114
        .size:           2
        .value_kind:     hidden_remainder_x
      - .offset:         116
        .size:           2
        .value_kind:     hidden_remainder_y
      - .offset:         118
        .size:           2
        .value_kind:     hidden_remainder_z
      - .offset:         136
        .size:           8
        .value_kind:     hidden_global_offset_x
      - .offset:         144
        .size:           8
        .value_kind:     hidden_global_offset_y
      - .offset:         152
        .size:           8
        .value_kind:     hidden_global_offset_z
      - .offset:         160
        .size:           2
        .value_kind:     hidden_grid_dims
    .group_segment_fixed_size: 36868
    .kernarg_segment_align: 8
    .kernarg_segment_size: 352
    .language:       OpenCL C
    .language_version:
      - 2
      - 0
    .max_flat_workgroup_size: 256
    .name:           _ZN6thrust23THRUST_200600_302600_NS11hip_rocprim16__set_operations22lookback_set_op_kernelIN7rocprim17ROCPRIM_400000_NS13kernel_configILj256ELj16ELj4294967295EEELb0ENS0_6detail15normal_iteratorINS0_10device_ptrIKiEEEESD_PiSE_lNS0_16discard_iteratorINS0_11use_defaultEEESE_NS0_4lessIiEENS2_23serial_set_intersectionENS5_6detail19lookback_scan_stateIlLb0ELb1EEEEEvT1_T2_T3_T4_T6_T7_T8_T9_PNS0_4pairIT5_SX_EEPSX_T10_NSL_16ordered_block_idIjEE
    .private_segment_fixed_size: 0
    .sgpr_count:     44
    .sgpr_spill_count: 0
    .symbol:         _ZN6thrust23THRUST_200600_302600_NS11hip_rocprim16__set_operations22lookback_set_op_kernelIN7rocprim17ROCPRIM_400000_NS13kernel_configILj256ELj16ELj4294967295EEELb0ENS0_6detail15normal_iteratorINS0_10device_ptrIKiEEEESD_PiSE_lNS0_16discard_iteratorINS0_11use_defaultEEESE_NS0_4lessIiEENS2_23serial_set_intersectionENS5_6detail19lookback_scan_stateIlLb0ELb1EEEEEvT1_T2_T3_T4_T6_T7_T8_T9_PNS0_4pairIT5_SX_EEPSX_T10_NSL_16ordered_block_idIjEE.kd
    .uniform_work_group_size: 1
    .uses_dynamic_stack: false
    .vgpr_count:     74
    .vgpr_spill_count: 0
    .wavefront_size: 32
    .workgroup_processor_mode: 1
amdhsa.target:   amdgcn-amd-amdhsa--gfx1100
amdhsa.version:
  - 1
  - 2
...

	.end_amdgpu_metadata
